;; amdgpu-corpus repo=ROCm/aiter kind=harvested arch=n/a opt=n/a

/root/src/amdgpu-assembly/repos/ROCm__aiter/hsa/gfx950/fmoe/silu/fmoe_fp16_pertokenInt8_g1u1_multix_silu_1tg_32x384.co:	file format elf64-amdgpu

Disassembly of section .text:

0000000000002e00 <_ZN5aiter50fmoe_fp16_pertokenInt8_g1u1_multix_silu_1tg_32x384E>:
	s_and_b32 s1, s1, 0xffff                                   // 000000002E00: 8601FF01 0000FFFF
	s_load_dwordx2 s[8:9], s[0:1], 0x0                         // 000000002E08: C0060200 00000000
	s_load_dwordx2 s[20:21], s[0:1], 0x10                      // 000000002E10: C0060500 00000010
	s_load_dwordx2 s[24:25], s[0:1], 0x20                      // 000000002E18: C0060600 00000020
	s_load_dwordx2 s[50:51], s[0:1], 0x30                      // 000000002E20: C0060C80 00000030
	s_load_dwordx2 s[12:13], s[0:1], 0x40                      // 000000002E28: C0060300 00000040
	s_load_dwordx2 s[28:29], s[0:1], 0x50                      // 000000002E30: C0060700 00000050
	s_load_dwordx2 s[32:33], s[0:1], 0x60                      // 000000002E38: C0060800 00000060
	s_load_dwordx2 s[16:17], s[0:1], 0x70                      // 000000002E40: C0060400 00000070
	s_load_dwordx2 s[36:37], s[0:1], 0x80                      // 000000002E48: C0060900 00000080
	s_load_dwordx2 s[44:45], s[0:1], 0x90                      // 000000002E50: C0060B00 00000090
	s_load_dwordx2 s[40:41], s[0:1], 0xa0                      // 000000002E58: C0060A00 000000A0
	s_load_dwordx2 s[46:47], s[0:1], 0xb0                      // 000000002E60: C0060B80 000000B0
	s_load_dword s64, s[0:1], 0xc0                             // 000000002E68: C0021000 000000C0
	s_load_dword s65, s[0:1], 0xd0                             // 000000002E70: C0021040 000000D0
	s_load_dword s66, s[0:1], 0xe0                             // 000000002E78: C0021080 000000E0
	s_load_dword s67, s[0:1], 0xf0                             // 000000002E80: C00210C0 000000F0
	s_load_dword s68, s[0:1], 0x100                            // 000000002E88: C0021100 00000100
	s_load_dword s69, s[0:1], 0x110                            // 000000002E90: C0021140 00000110
	s_load_dword s70, s[0:1], 0x120                            // 000000002E98: C0021180 00000120
	s_load_dword s71, s[0:1], 0x130                            // 000000002EA0: C00211C0 00000130
	s_load_dword s72, s[0:1], 0x140                            // 000000002EA8: C0021200 00000140
	s_load_dword s73, s[0:1], 0x150                            // 000000002EB0: C0021240 00000150
	s_load_dword s74, s[0:1], 0x160                            // 000000002EB8: C0021280 00000160
	s_load_dword s75, s[0:1], 0x170                            // 000000002EC0: C00212C0 00000170
	s_load_dword s76, s[0:1], 0x180                            // 000000002EC8: C0021300 00000180
	s_load_dword s63, s[0:1], 0x190                            // 000000002ED0: C0020FC0 00000190
	v_lshrrev_b32_e32 v1, 10, v0                               // 000000002ED8: 2002008A
	v_lshrrev_b32_e32 v2, 10, v1                               // 000000002EDC: 2004028A
	v_and_b32_e32 v2, 0x3ff, v2                                // 000000002EE0: 260404FF 000003FF
	v_and_b32_e32 v1, 0x3ff, v1                                // 000000002EE8: 260202FF 000003FF
	v_and_b32_e32 v0, 0x3ff, v0                                // 000000002EF0: 260000FF 000003FF
	v_lshrrev_b32_e32 v3, 6, v0                                // 000000002EF8: 20060086
	v_and_b32_e32 v0, 63, v0                                   // 000000002EFC: 260000BF
	s_mov_b32 s2, s2                                           // 000000002F00: BE820002
	s_mov_b32 s3, s3                                           // 000000002F04: BE830003
	s_mov_b32 s4, s4                                           // 000000002F08: BE840004
	v_readfirstlane_b32 s7, v3                                 // 000000002F0C: 7E0E0503
	s_waitcnt lgkmcnt(0)                                       // 000000002F10: BF8CC07F
	s_and_b32 s51, s51, 0xffff                                 // 000000002F14: 8633FF33 0000FFFF
	s_load_dword s50, s[50:51], 0x0                            // 000000002F1C: C0020C99 00000000
	s_and_b32 s45, s45, 0xffff                                 // 000000002F24: 862DFF2D 0000FFFF
	s_and_b32 s47, s47, 0xffff                                 // 000000002F2C: 862FFF2F 0000FFFF
	s_and_b32 s9, s9, 0xffff                                   // 000000002F34: 8609FF09 0000FFFF
	s_mul_i32 s60, s66, s68                                    // 000000002F3C: 923C4442
	s_mul_i32 s60, s63, s60                                    // 000000002F40: 923C3C3F
	s_mul_i32 s61, s66, 4                                      // 000000002F44: 923D8442
	s_mul_i32 s61, s63, s61                                    // 000000002F48: 923D3D3F
	s_mov_b32 s22, s60                                         // 000000002F4C: BE96003C
	s_mov_b32 s26, -16                                         // 000000002F50: BE9A00D0
	s_mov_b32 s14, -16                                         // 000000002F54: BE8E00D0
	s_mov_b32 s42, -16                                         // 000000002F58: BEAA00D0
	s_mov_b32 s30, s61                                         // 000000002F5C: BE9E003D
	s_mov_b32 s34, 0x600                                       // 000000002F60: BEA200FF 00000600
	s_mov_b32 s38, 0x600                                       // 000000002F68: BEA600FF 00000600
	s_mov_b32 s18, -16                                         // 000000002F70: BE9200D0
	s_mov_b32 s23, 0x20000                                     // 000000002F74: BE9700FF 00020000
	s_mov_b32 s27, 0x20000                                     // 000000002F7C: BE9B00FF 00020000
	s_mov_b32 s15, 0x20000                                     // 000000002F84: BE8F00FF 00020000
	s_mov_b32 s43, 0x20000                                     // 000000002F8C: BEAB00FF 00020000
	s_mov_b32 s31, 0x20000                                     // 000000002F94: BE9F00FF 00020000
	s_mov_b32 s35, 0x20000                                     // 000000002F9C: BEA300FF 00020000
	s_mov_b32 s39, 0x20000                                     // 000000002FA4: BEA700FF 00020000
	s_mov_b32 s19, 0x20000                                     // 000000002FAC: BE9300FF 00020000
	s_and_b32 s21, s21, 0xffff                                 // 000000002FB4: 8615FF15 0000FFFF
	s_and_b32 s25, s25, 0xffff                                 // 000000002FBC: 8619FF19 0000FFFF
	s_and_b32 s13, s13, 0xffff                                 // 000000002FC4: 860DFF0D 0000FFFF
	s_and_b32 s41, s41, 0xffff                                 // 000000002FCC: 8629FF29 0000FFFF
	s_and_b32 s29, s29, 0xffff                                 // 000000002FD4: 861DFF1D 0000FFFF
	s_and_b32 s33, s33, 0xffff                                 // 000000002FDC: 8621FF21 0000FFFF
	s_and_b32 s37, s37, 0xffff                                 // 000000002FE4: 8625FF25 0000FFFF
	s_and_b32 s17, s17, 0xffff                                 // 000000002FEC: 8611FF11 0000FFFF
	s_or_b32 s21, s21, 0x40000                                 // 000000002FF4: 8715FF15 00040000
	s_or_b32 s25, s25, 0x40000                                 // 000000002FFC: 8719FF19 00040000
	s_or_b32 s13, s13, 0x40000                                 // 000000003004: 870DFF0D 00040000
	s_or_b32 s41, s41, 0x40000                                 // 00000000300C: 8729FF29 00040000
	s_or_b32 s29, s29, 0x40000                                 // 000000003014: 871DFF1D 00040000
	s_or_b32 s33, s33, 0x40000                                 // 00000000301C: 8721FF21 00040000
	s_or_b32 s37, s37, 0x40000                                 // 000000003024: 8725FF25 00040000
	s_or_b32 s17, s17, 0x40000                                 // 00000000302C: 8711FF11 00040000
	v_accvgpr_write_b32 a191, 0                                // 000000003034: D3D940BF 18000080
	v_mov_b32_e32 v239, 0                                      // 00000000303C: 7FDE0280
	s_waitcnt lgkmcnt(0)                                       // 000000003040: BF8CC07F
	s_mul_i32 s60, s3, 32                                      // 000000003044: 923CA003
	s_cmp_lt_i32 s60, s50                                      // 000000003048: BF04323C
	s_cbranch_scc0 label_223B                                  // 00000000304C: BF8421A7
	s_mov_b32 s80, 0                                           // 000000003050: BED00080
	s_mov_b32 s81, s64                                         // 000000003054: BED10040
	s_mul_i32 s60, s3, 4                                       // 000000003058: 923C8403
	s_add_u32 s46, s60, s46                                    // 00000000305C: 802E2E3C
	s_addc_u32 s47, 0, s47                                     // 000000003060: 822F2F80
	s_load_dword s5, s[46:47], 0x0                             // 000000003064: C0020157 00000000
	s_mul_i32 s60, s3, 32                                      // 00000000306C: 923CA003
	s_mul_i32 s60, 4, s60                                      // 000000003070: 923C3C84
	v_and_b32_e32 v50, 15, v0                                  // 000000003074: 2664008F
	v_lshlrev_b32_e32 v50, 2, v50                              // 000000003078: 24646482
	v_add_u32_e32 v50, s60, v50                                // 00000000307C: 6864643C
	v_mov_b32_e32 v51, 0                                       // 000000003080: 7E660280
	global_load_dword v6, v50, s[44:45]                        // 000000003084: DC508000 062C0032
	v_add_u32_e32 v50, 64, v50                                 // 00000000308C: 686464C0
	global_load_dword v7, v50, s[44:45]                        // 000000003090: DC508000 072C0032
	s_mul_i32 s60, s3, 32                                      // 000000003098: 923CA003
	s_add_u32 s60, s7, s60                                     // 00000000309C: 803C3C07
	s_mul_i32 s60, 4, s60                                      // 0000000030A0: 923C3C84
	s_add_u32 s44, s60, s44                                    // 0000000030A4: 802C2C3C
	s_addc_u32 s45, 0, s45                                     // 0000000030A8: 822D2D80
	s_load_dword s82, s[44:45], 0x0                            // 0000000030AC: C0021496 00000000
	s_load_dword s83, s[44:45], 0x10                           // 0000000030B4: C00214D6 00000010
	s_load_dword s84, s[44:45], 0x20                           // 0000000030BC: C0021516 00000020
	s_load_dword s85, s[44:45], 0x30                           // 0000000030C4: C0021556 00000030
	s_load_dword s86, s[44:45], 0x40                           // 0000000030CC: C0021596 00000040
	s_load_dword s87, s[44:45], 0x50                           // 0000000030D4: C00215D6 00000050
	s_load_dword s88, s[44:45], 0x60                           // 0000000030DC: C0021616 00000060
	s_load_dword s89, s[44:45], 0x70                           // 0000000030E4: C0021656 00000070
	s_waitcnt lgkmcnt(0)                                       // 0000000030EC: BF8CC07F
	v_lshlrev_b32_e32 v50, 2, v0                               // 0000000030F0: 24640082
	s_lshr_b32 s61, s82, 24                                    // 0000000030F4: 8F3D9852
	s_mul_i32 s61, s61, s68                                    // 0000000030F8: 923D443D
	s_mul_i32 s61, s61, s66                                    // 0000000030FC: 923D423D
	s_and_b32 s82, s82, 0xffffff                               // 000000003100: 8652FF52 00FFFFFF
	s_mul_i32 s60, s82, s68                                    // 000000003108: 923C4452
	s_add_u32 s60, s61, s60                                    // 00000000310C: 803C3C3D
	v_add_u32_e64 v26, v50, s60                                // 000000003110: D134001A 00007932
	s_lshr_b32 s61, s83, 24                                    // 000000003118: 8F3D9853
	s_mul_i32 s61, s61, s68                                    // 00000000311C: 923D443D
	s_mul_i32 s61, s61, s66                                    // 000000003120: 923D423D
	s_and_b32 s83, s83, 0xffffff                               // 000000003124: 8653FF53 00FFFFFF
	s_mul_i32 s60, s83, s68                                    // 00000000312C: 923C4453
	s_add_u32 s60, s61, s60                                    // 000000003130: 803C3C3D
	v_add_u32_e64 v27, v50, s60                                // 000000003134: D134001B 00007932
	s_lshr_b32 s61, s84, 24                                    // 00000000313C: 8F3D9854
	s_mul_i32 s61, s61, s68                                    // 000000003140: 923D443D
	s_mul_i32 s61, s61, s66                                    // 000000003144: 923D423D
	s_and_b32 s84, s84, 0xffffff                               // 000000003148: 8654FF54 00FFFFFF
	s_mul_i32 s60, s84, s68                                    // 000000003150: 923C4454
	s_add_u32 s60, s61, s60                                    // 000000003154: 803C3C3D
	v_add_u32_e64 v28, v50, s60                                // 000000003158: D134001C 00007932
	s_lshr_b32 s61, s85, 24                                    // 000000003160: 8F3D9855
	s_mul_i32 s61, s61, s68                                    // 000000003164: 923D443D
	s_mul_i32 s61, s61, s66                                    // 000000003168: 923D423D
	s_and_b32 s85, s85, 0xffffff                               // 00000000316C: 8655FF55 00FFFFFF
	s_mul_i32 s60, s85, s68                                    // 000000003174: 923C4455
	s_add_u32 s60, s61, s60                                    // 000000003178: 803C3C3D
	v_add_u32_e64 v29, v50, s60                                // 00000000317C: D134001D 00007932
	s_lshr_b32 s61, s86, 24                                    // 000000003184: 8F3D9856
	s_mul_i32 s61, s61, s68                                    // 000000003188: 923D443D
	s_mul_i32 s61, s61, s66                                    // 00000000318C: 923D423D
	s_and_b32 s86, s86, 0xffffff                               // 000000003190: 8656FF56 00FFFFFF
	s_mul_i32 s60, s86, s68                                    // 000000003198: 923C4456
	s_add_u32 s60, s61, s60                                    // 00000000319C: 803C3C3D
	v_add_u32_e64 v30, v50, s60                                // 0000000031A0: D134001E 00007932
	s_lshr_b32 s61, s87, 24                                    // 0000000031A8: 8F3D9857
	s_mul_i32 s61, s61, s68                                    // 0000000031AC: 923D443D
	s_mul_i32 s61, s61, s66                                    // 0000000031B0: 923D423D
	s_and_b32 s87, s87, 0xffffff                               // 0000000031B4: 8657FF57 00FFFFFF
	s_mul_i32 s60, s87, s68                                    // 0000000031BC: 923C4457
	s_add_u32 s60, s61, s60                                    // 0000000031C0: 803C3C3D
	v_add_u32_e64 v31, v50, s60                                // 0000000031C4: D134001F 00007932
	s_lshr_b32 s61, s88, 24                                    // 0000000031CC: 8F3D9858
	s_mul_i32 s61, s61, s68                                    // 0000000031D0: 923D443D
	s_mul_i32 s61, s61, s66                                    // 0000000031D4: 923D423D
	s_and_b32 s88, s88, 0xffffff                               // 0000000031D8: 8658FF58 00FFFFFF
	s_mul_i32 s60, s88, s68                                    // 0000000031E0: 923C4458
	s_add_u32 s60, s61, s60                                    // 0000000031E4: 803C3C3D
	v_add_u32_e64 v32, v50, s60                                // 0000000031E8: D1340020 00007932
	s_lshr_b32 s61, s89, 24                                    // 0000000031F0: 8F3D9859
	s_mul_i32 s61, s61, s68                                    // 0000000031F4: 923D443D
	s_mul_i32 s61, s61, s66                                    // 0000000031F8: 923D423D
	s_and_b32 s89, s89, 0xffffff                               // 0000000031FC: 8659FF59 00FFFFFF
	s_mul_i32 s60, s89, s68                                    // 000000003204: 923C4459
	s_add_u32 s60, s61, s60                                    // 000000003208: 803C3C3D
	v_add_u32_e64 v33, v50, s60                                // 00000000320C: D1340021 00007932
	v_lshlrev_b32_e32 v50, 2, v0                               // 000000003214: 24640082
	s_mul_i32 s60, s82, s71                                    // 000000003218: 923C4752
	v_add_u32_e64 v80, v50, s60                                // 00000000321C: D1340050 00007932
	v_mov_b32_e32 v81, 0                                       // 000000003224: 7EA20280
	s_mul_i32 s60, s83, s71                                    // 000000003228: 923C4753
	v_add_u32_e64 v82, v50, s60                                // 00000000322C: D1340052 00007932
	v_mov_b32_e32 v83, 0                                       // 000000003234: 7EA60280
	s_mul_i32 s60, s84, s71                                    // 000000003238: 923C4754
	v_add_u32_e64 v84, v50, s60                                // 00000000323C: D1340054 00007932
	v_mov_b32_e32 v85, 0                                       // 000000003244: 7EAA0280
	s_mul_i32 s60, s85, s71                                    // 000000003248: 923C4755
	v_add_u32_e64 v86, v50, s60                                // 00000000324C: D1340056 00007932
	v_mov_b32_e32 v87, 0                                       // 000000003254: 7EAE0280
	s_mul_i32 s60, s86, s71                                    // 000000003258: 923C4756
	v_add_u32_e64 v88, v50, s60                                // 00000000325C: D1340058 00007932
	v_mov_b32_e32 v89, 0                                       // 000000003264: 7EB20280
	s_mul_i32 s60, s87, s71                                    // 000000003268: 923C4757
	v_add_u32_e64 v90, v50, s60                                // 00000000326C: D134005A 00007932
	v_mov_b32_e32 v91, 0                                       // 000000003274: 7EB60280
	s_mul_i32 s60, s88, s71                                    // 000000003278: 923C4758
	v_add_u32_e64 v92, v50, s60                                // 00000000327C: D134005C 00007932
	v_mov_b32_e32 v93, 0                                       // 000000003284: 7EBA0280
	s_mul_i32 s60, s89, s71                                    // 000000003288: 923C4759
	v_add_u32_e64 v94, v50, s60                                // 00000000328C: D134005E 00007932
	v_mov_b32_e32 v95, 0                                       // 000000003294: 7EBE0280
	s_mul_i32 s60, s7, 0x820                                   // 000000003298: 923CFF07 00000820
	s_add_u32 s50, 0, s60                                      // 0000000032A0: 80323C80
	s_add_u32 s51, 0x2080, s50                                 // 0000000032A4: 803332FF 00002080
	v_lshrrev_b32_e32 v50, 4, v0                               // 0000000032AC: 20640084
	v_lshlrev_b32_e32 v51, 2, v50                              // 0000000032B0: 24666482
	v_and_b32_e32 v50, 15, v0                                  // 0000000032B4: 2664008F
	v_lshrrev_b32_e32 v52, 2, v50                              // 0000000032B8: 20686482
	v_lshlrev_b32_e32 v52, 6, v52                              // 0000000032BC: 24686886
	v_add_u32_e32 v51, v52, v51                                // 0000000032C0: 68666734
	v_and_b32_e32 v50, 3, v0                                   // 0000000032C4: 26640083
	v_mul_i32_i24_e32 v52, 0x208, v50                          // 0000000032C8: 0C6864FF 00000208
	v_add_u32_e32 v51, v52, v51                                // 0000000032D0: 68666734
	v_lshlrev_b32_e32 v2, 2, v51                               // 0000000032D4: 24046682
	s_mul_i32 s60, s2, 0x180                                   // 0000000032D8: 923CFF02 00000180
	s_mul_i32 s60, s60, s69                                    // 0000000032E0: 923C453C
	s_mul_i32 s61, s5, s72                                     // 0000000032E4: 923D4805
	s_add_u32 s60, s61, s60                                    // 0000000032E8: 803C3C3D
	s_add_u32 s24, s60, s24                                    // 0000000032EC: 8018183C
	s_addc_u32 s25, 0, s25                                     // 0000000032F0: 82191980
	s_mul_i32 s60, s7, 16                                      // 0000000032F4: 923C9007
	s_mul_i32 s60, s60, s69                                    // 0000000032F8: 923C453C
	v_lshlrev_b32_e32 v34, 4, v0                               // 0000000032FC: 24440084
	v_add_u32_e32 v34, s60, v34                                // 000000003300: 6844443C
	s_mul_i32 s60, 64, s69                                     // 000000003304: 923C45C0
	v_add_u32_e32 v35, s60, v34                                // 000000003308: 6846443C
	v_add_u32_e32 v36, s60, v35                                // 00000000330C: 6848463C
	v_add_u32_e32 v37, s60, v36                                // 000000003310: 684A483C
	v_add_u32_e32 v38, s60, v37                                // 000000003314: 684C4A3C
	v_add_u32_e32 v39, s60, v38                                // 000000003318: 684E4C3C
	s_mov_b32 s92, s24                                         // 00000000331C: BEDC0018
	s_mov_b32 s93, s25                                         // 000000003320: BEDD0019
	s_mov_b32 s94, s26                                         // 000000003324: BEDE001A
	s_mov_b32 s95, s27                                         // 000000003328: BEDF001B
	s_mul_i32 s60, s69, s65                                    // 00000000332C: 923C4145
	s_add_u32 s92, s60, s92                                    // 000000003330: 805C5C3C
	s_addc_u32 s93, 0, s93                                     // 000000003334: 825D5D80
	s_mul_i32 s60, s2, 0x1800                                  // 000000003338: 923CFF02 00001800
	s_mul_i32 s61, s5, s73                                     // 000000003340: 923D4905
	s_add_u32 s60, s61, s60                                    // 000000003344: 803C3C3D
	s_add_u32 s12, s60, s12                                    // 000000003348: 800C0C3C
	s_addc_u32 s13, 0, s13                                     // 00000000334C: 820D0D80
	s_mul_i32 s60, s7, 16                                      // 000000003350: 923C9007
	s_mul_i32 s60, s60, s70                                    // 000000003354: 923C463C
	v_lshlrev_b32_e32 v40, 4, v0                               // 000000003358: 24500084
	v_add_u32_e32 v40, s60, v40                                // 00000000335C: 6850503C
	s_mul_i32 s60, 64, s70                                     // 000000003360: 923C46C0
	v_add_u32_e32 v41, s60, v40                                // 000000003364: 6852503C
	v_add_u32_e32 v42, s60, v41                                // 000000003368: 6854523C
	v_add_u32_e32 v43, s60, v42                                // 00000000336C: 6856543C
	s_mul_i32 s60, s70, 0x100                                  // 000000003370: 923CFF46 00000100
	s_mov_b32 s78, 0x400                                       // 000000003378: BECE00FF 00000400
	s_mul_i32 s61, s78, 5                                      // 000000003380: 923D854E
	s_sub_u32 s56, s60, s61                                    // 000000003384: 80B83D3C
	s_mul_i32 s60, s3, 32                                      // 000000003388: 923CA003
	s_mul_i32 s60, 4, s60                                      // 00000000338C: 923C3C84
	s_add_u32 s40, s60, s40                                    // 000000003390: 8028283C
	s_addc_u32 s41, 0, s41                                     // 000000003394: 82292980
	v_and_b32_e32 v50, 15, v0                                  // 000000003398: 2664008F
	v_lshlrev_b32_e32 v8, 2, v50                               // 00000000339C: 24106482
	v_add_u32_e32 v9, 64, v8                                   // 0000000033A0: 681210C0
	v_lshrrev_b32_e32 v50, 4, v0                               // 0000000033A4: 20640084
	v_lshlrev_b32_e32 v51, 2, v50                              // 0000000033A8: 24666482
	v_and_b32_e32 v50, 15, v0                                  // 0000000033AC: 2664008F
	v_lshrrev_b32_e32 v52, 2, v50                              // 0000000033B0: 20686482
	v_lshlrev_b32_e32 v52, 6, v52                              // 0000000033B4: 24686886
	v_add_u32_e32 v51, v52, v51                                // 0000000033B8: 68666734
	v_and_b32_e32 v50, 3, v0                                   // 0000000033BC: 26640083
	v_add_u32_e32 v51, v50, v51                                // 0000000033C0: 68666732
	v_lshlrev_b32_e32 v10, 2, v51                              // 0000000033C4: 24146682
	v_add_u32_e32 v11, 0x400, v10                              // 0000000033C8: 681614FF 00000400
	s_mul_i32 s60, s7, 16                                      // 0000000033D0: 923C9007
	s_mul_i32 s60, s60, 4                                      // 0000000033D4: 923C843C
	v_add_u32_e32 v10, s60, v10                                // 0000000033D8: 6814143C
	v_add_u32_e32 v11, s60, v11                                // 0000000033DC: 6816163C
	v_mov_b32_e32 v5, v10                                      // 0000000033E0: 7E0A030A
	s_mul_i32 s60, s2, 0x180                                   // 0000000033E4: 923CFF02 00000180
	s_mul_i32 s60, s60, 4                                      // 0000000033EC: 923C843C
	s_mul_i32 s61, s5, s74                                     // 0000000033F0: 923D4A05
	s_add_u32 s61, s61, s60                                    // 0000000033F4: 803D3C3D
	s_mul_i32 s62, s5, s76                                     // 0000000033F8: 923E4C05
	s_add_u32 s62, s62, s60                                    // 0000000033FC: 803E3C3E
	s_add_u32 s32, s61, s32                                    // 000000003400: 8020203D
	s_addc_u32 s33, 0, s33                                     // 000000003404: 82212180
	s_add_u32 s36, s62, s36                                    // 000000003408: 8024243E
	s_addc_u32 s37, 0, s37                                     // 00000000340C: 82252580
	s_mul_i32 s60, s5, s75                                     // 000000003410: 923C4B05
	s_add_u32 s16, s60, s16                                    // 000000003414: 8010103C
	s_addc_u32 s17, 0, s17                                     // 000000003418: 82111180
	s_mov_b32 s57, 0x100                                       // 00000000341C: BEB900FF 00000100
	s_mov_b32 s58, 0x1000                                      // 000000003424: BEBA00FF 00001000
	s_mov_b32 s79, 0x400                                       // 00000000342C: BECF00FF 00000400
	s_mov_b32 s59, 0x200                                       // 000000003434: BEBB00FF 00000200
	s_mov_b32 s90, s58                                         // 00000000343C: BEDA003A
	s_mov_b32 s52, 0x7060302                                   // 000000003440: BEB400FF 07060302
	s_mov_b32 s53, 0x400                                       // 000000003448: BEB500FF 00000400
	s_mov_b32 s54, 0x40100                                     // 000000003450: BEB600FF 00040100
	s_mov_b32 s55, 0x4020100                                   // 000000003458: BEB700FF 04020100
	s_mov_b32 s6, 0x3fb8aa3b                                   // 000000003460: BE8600FF 3FB8AA3B
	s_mov_b32 s77, 0xbd92220c                                  // 000000003468: BECD00FF BD92220C
	s_mov_b32 m0, s50                                          // 000000003470: BEFC0032
	v_mov_b32_e32 v1, 0xbfcc4231                               // 000000003474: 7E0202FF BFCC4231
	v_mov_b32_e32 v45, 0xffff0000                              // 00000000347C: 7E5A02FF FFFF0000
	v_mov_b32_e32 v46, 0x7fff0000                              // 000000003484: 7E5C02FF 7FFF0000
	v_mov_b32_e32 v47, 0x7fff                                  // 00000000348C: 7E5E02FF 00007FFF
	s_waitcnt vmcnt(0) expcnt(0) lgkmcnt(0)                    // 000000003494: BF8C0000
	v_lshrrev_b32_e32 v50, 24, v6                              // 000000003498: 20640C98
	v_mul_i32_i24_e32 v50, s66, v50                            // 00000000349C: 0C646442
	v_and_b32_e32 v51, 0xffffff, v6                            // 0000000034A0: 26660CFF 00FFFFFF
	v_add_u32_e32 v6, v50, v51                                 // 0000000034A8: 680C6732
	v_lshrrev_b32_e32 v50, 24, v7                              // 0000000034AC: 20640E98
	v_mul_i32_i24_e32 v50, s66, v50                            // 0000000034B0: 0C646442
	v_and_b32_e32 v51, 0xffffff, v7                            // 0000000034B4: 26660EFF 00FFFFFF
	v_add_u32_e32 v7, v50, v51                                 // 0000000034BC: 680E6732
	v_lshlrev_b32_e32 v6, 2, v6                                // 0000000034C0: 240C0C82
	v_lshlrev_b32_e32 v7, 2, v7                                // 0000000034C4: 240E0E82
	buffer_load_dword v14, v6, s[28:31], 0 offen               // 0000000034C8: E0501000 80070E06
	buffer_load_dword v15, v7, s[28:31], 0 offen               // 0000000034D0: E0501000 80070F07
	buffer_load_dword v16, v10, s[32:35], 0 offen              // 0000000034D8: E0501000 8008100A
	buffer_load_dword v17, v11, s[32:35], 0 offen              // 0000000034E0: E0501000 8008110B
	s_mul_i32 s60, 4, s65                                      // 0000000034E8: 923C4184
	s_add_u32 s32, s60, s32                                    // 0000000034EC: 8020203C
	s_addc_u32 s33, 0, s33                                     // 0000000034F0: 82212180
	buffer_load_dword v48, v10, s[32:35], 0 offen              // 0000000034F4: E0501000 8008300A
	buffer_load_dword v49, v11, s[32:35], 0 offen              // 0000000034FC: E0501000 8008310B
	buffer_load_dword v18, v10, s[36:39], 0 offen              // 000000003504: E0501000 8009120A
	buffer_load_dword v19, v11, s[36:39], 0 offen              // 00000000350C: E0501000 8009130B
	buffer_load_dword v20, v8, s[40:43], 0 offen               // 000000003514: E0501000 800A1408
	buffer_load_dword v21, v9, s[40:43], 0 offen               // 00000000351C: E0501000 800A1509
	buffer_load_dword v26, s[20:23], 0 offen lds               // 000000003524: E0511000 8005001A
	s_add_u32 m0, 0x100, s50                                   // 00000000352C: 807C32FF 00000100
	buffer_load_dword v27, s[20:23], 0 offen lds               // 000000003534: E0511000 8005001B
	s_add_u32 m0, 0x200, s50                                   // 00000000353C: 807C32FF 00000200
	buffer_load_dword v28, s[20:23], 0 offen lds               // 000000003544: E0511000 8005001C
	s_add_u32 m0, 0x300, s50                                   // 00000000354C: 807C32FF 00000300
	buffer_load_dword v29, s[20:23], 0 offen lds               // 000000003554: E0511000 8005001D
	s_add_u32 m0, 0x400, s50                                   // 00000000355C: 807C32FF 00000400
	buffer_load_dword v30, s[20:23], 0 offen lds               // 000000003564: E0511000 8005001E
	s_add_u32 m0, 0x500, s50                                   // 00000000356C: 807C32FF 00000500
	buffer_load_dword v31, s[20:23], 0 offen lds               // 000000003574: E0511000 8005001F
	s_add_u32 m0, 0x600, s50                                   // 00000000357C: 807C32FF 00000600
	buffer_load_dword v32, s[20:23], 0 offen lds               // 000000003584: E0511000 80050020
	s_add_u32 m0, 0x700, s50                                   // 00000000358C: 807C32FF 00000700
	buffer_load_dword v33, s[20:23], 0 offen lds               // 000000003594: E0511000 80050021
	s_add_u32 m0, 0, s51                                       // 00000000359C: 807C3380
	s_add_u32 s20, s57, s20                                    // 0000000035A0: 80141439
	s_addc_u32 s21, 0, s21                                     // 0000000035A4: 82151580
	buffer_load_dwordx4 a[0:3], v34, s[24:27], 0 offen         // 0000000035A8: E05C1000 80860022
	buffer_load_dwordx4 a[4:7], v34, s[24:27], 0 offen offset:1024// 0000000035B0: E05C1400 80860422
	buffer_load_dwordx4 a[8:11], v34, s[24:27], 0 offen offset:2048// 0000000035B8: E05C1800 80860822
	buffer_load_dwordx4 a[12:15], v34, s[24:27], 0 offen offset:3072// 0000000035C0: E05C1C00 80860C22
	buffer_load_dwordx4 a[16:19], v35, s[24:27], 0 offen       // 0000000035C8: E05C1000 80861023
	buffer_load_dwordx4 a[20:23], v35, s[24:27], 0 offen offset:1024// 0000000035D0: E05C1400 80861423
	buffer_load_dwordx4 a[24:27], v35, s[24:27], 0 offen offset:2048// 0000000035D8: E05C1800 80861823
	buffer_load_dwordx4 a[28:31], v35, s[24:27], 0 offen offset:3072// 0000000035E0: E05C1C00 80861C23
	buffer_load_dwordx4 a[32:35], v36, s[24:27], 0 offen       // 0000000035E8: E05C1000 80862024
	buffer_load_dwordx4 a[36:39], v36, s[24:27], 0 offen offset:1024// 0000000035F0: E05C1400 80862424
	buffer_load_dwordx4 a[40:43], v36, s[24:27], 0 offen offset:2048// 0000000035F8: E05C1800 80862824
	buffer_load_dwordx4 a[44:47], v36, s[24:27], 0 offen offset:3072// 000000003600: E05C1C00 80862C24
	buffer_load_dwordx4 a[48:51], v37, s[24:27], 0 offen       // 000000003608: E05C1000 80863025
	buffer_load_dwordx4 a[52:55], v37, s[24:27], 0 offen offset:1024// 000000003610: E05C1400 80863425
	buffer_load_dwordx4 a[56:59], v37, s[24:27], 0 offen offset:2048// 000000003618: E05C1800 80863825
	buffer_load_dwordx4 a[60:63], v37, s[24:27], 0 offen offset:3072// 000000003620: E05C1C00 80863C25
	buffer_load_dwordx4 a[64:67], v38, s[24:27], 0 offen       // 000000003628: E05C1000 80864026
	buffer_load_dwordx4 a[68:71], v38, s[24:27], 0 offen offset:1024// 000000003630: E05C1400 80864426
	buffer_load_dwordx4 a[72:75], v38, s[24:27], 0 offen offset:2048// 000000003638: E05C1800 80864826
	buffer_load_dwordx4 a[76:79], v38, s[24:27], 0 offen offset:3072// 000000003640: E05C1C00 80864C26
	buffer_load_dwordx4 a[80:83], v39, s[24:27], 0 offen       // 000000003648: E05C1000 80865027
	buffer_load_dwordx4 a[84:87], v39, s[24:27], 0 offen offset:1024// 000000003650: E05C1400 80865427
	buffer_load_dwordx4 a[88:91], v39, s[24:27], 0 offen offset:2048// 000000003658: E05C1800 80865827
	buffer_load_dwordx4 a[92:95], v39, s[24:27], 0 offen offset:3072// 000000003660: E05C1C00 80865C27
	s_add_u32 s24, s58, s24                                    // 000000003668: 8018183A
	s_addc_u32 s25, 0, s25                                     // 00000000366C: 82191980
	v_mov_b32_e32 v128, 0                                      // 000000003670: 7F000280
	v_mov_b32_e32 v64, 0                                       // 000000003674: 7E800280
	v_mov_b32_e32 v129, 0                                      // 000000003678: 7F020280
	v_mov_b32_e32 v65, 0                                       // 00000000367C: 7E820280
	v_mov_b32_e32 v130, 0                                      // 000000003680: 7F040280
	v_mov_b32_e32 v66, 0                                       // 000000003684: 7E840280
	v_mov_b32_e32 v131, 0                                      // 000000003688: 7F060280
	v_mov_b32_e32 v67, 0                                       // 00000000368C: 7E860280
	v_mov_b32_e32 v132, 0                                      // 000000003690: 7F080280
	v_mov_b32_e32 v68, 0                                       // 000000003694: 7E880280
	v_mov_b32_e32 v133, 0                                      // 000000003698: 7F0A0280
	v_mov_b32_e32 v69, 0                                       // 00000000369C: 7E8A0280
	v_mov_b32_e32 v134, 0                                      // 0000000036A0: 7F0C0280
	v_mov_b32_e32 v70, 0                                       // 0000000036A4: 7E8C0280
	v_mov_b32_e32 v135, 0                                      // 0000000036A8: 7F0E0280
	v_mov_b32_e32 v71, 0                                       // 0000000036AC: 7E8E0280
	v_mov_b32_e32 v136, 0                                      // 0000000036B0: 7F100280
	v_mov_b32_e32 v72, 0                                       // 0000000036B4: 7E900280
	v_mov_b32_e32 v137, 0                                      // 0000000036B8: 7F120280
	v_mov_b32_e32 v73, 0                                       // 0000000036BC: 7E920280
	v_mov_b32_e32 v138, 0                                      // 0000000036C0: 7F140280
	v_mov_b32_e32 v74, 0                                       // 0000000036C4: 7E940280
	v_mov_b32_e32 v139, 0                                      // 0000000036C8: 7F160280
	v_mov_b32_e32 v75, 0                                       // 0000000036CC: 7E960280
	v_mov_b32_e32 v140, 0                                      // 0000000036D0: 7F180280
	v_mov_b32_e32 v76, 0                                       // 0000000036D4: 7E980280
	v_mov_b32_e32 v141, 0                                      // 0000000036D8: 7F1A0280
	v_mov_b32_e32 v77, 0                                       // 0000000036DC: 7E9A0280
	v_mov_b32_e32 v142, 0                                      // 0000000036E0: 7F1C0280
	v_mov_b32_e32 v78, 0                                       // 0000000036E4: 7E9C0280
	v_mov_b32_e32 v143, 0                                      // 0000000036E8: 7F1E0280
	v_mov_b32_e32 v79, 0                                       // 0000000036EC: 7E9E0280
	v_mov_b32_e32 v144, 0                                      // 0000000036F0: 7F200280
	v_mov_b32_e32 v80, 0                                       // 0000000036F4: 7EA00280
	v_mov_b32_e32 v145, 0                                      // 0000000036F8: 7F220280
	v_mov_b32_e32 v81, 0                                       // 0000000036FC: 7EA20280
	v_mov_b32_e32 v146, 0                                      // 000000003700: 7F240280
	v_mov_b32_e32 v82, 0                                       // 000000003704: 7EA40280
	v_mov_b32_e32 v147, 0                                      // 000000003708: 7F260280
	v_mov_b32_e32 v83, 0                                       // 00000000370C: 7EA60280
	v_mov_b32_e32 v148, 0                                      // 000000003710: 7F280280
	v_mov_b32_e32 v84, 0                                       // 000000003714: 7EA80280
	v_mov_b32_e32 v149, 0                                      // 000000003718: 7F2A0280
	v_mov_b32_e32 v85, 0                                       // 00000000371C: 7EAA0280
	v_mov_b32_e32 v150, 0                                      // 000000003720: 7F2C0280
	v_mov_b32_e32 v86, 0                                       // 000000003724: 7EAC0280
	v_mov_b32_e32 v151, 0                                      // 000000003728: 7F2E0280
	v_mov_b32_e32 v87, 0                                       // 00000000372C: 7EAE0280
	v_mov_b32_e32 v152, 0                                      // 000000003730: 7F300280
	v_mov_b32_e32 v88, 0                                       // 000000003734: 7EB00280
	v_mov_b32_e32 v153, 0                                      // 000000003738: 7F320280
	v_mov_b32_e32 v89, 0                                       // 00000000373C: 7EB20280
	v_mov_b32_e32 v154, 0                                      // 000000003740: 7F340280
	v_mov_b32_e32 v90, 0                                       // 000000003744: 7EB40280
	v_mov_b32_e32 v155, 0                                      // 000000003748: 7F360280
	v_mov_b32_e32 v91, 0                                       // 00000000374C: 7EB60280
	v_mov_b32_e32 v156, 0                                      // 000000003750: 7F380280
	v_mov_b32_e32 v92, 0                                       // 000000003754: 7EB80280
	v_mov_b32_e32 v157, 0                                      // 000000003758: 7F3A0280
	v_mov_b32_e32 v93, 0                                       // 00000000375C: 7EBA0280
	v_mov_b32_e32 v158, 0                                      // 000000003760: 7F3C0280
	v_mov_b32_e32 v94, 0                                       // 000000003764: 7EBC0280
	v_mov_b32_e32 v159, 0                                      // 000000003768: 7F3E0280
	v_mov_b32_e32 v95, 0                                       // 00000000376C: 7EBE0280
	v_mov_b32_e32 v160, 0                                      // 000000003770: 7F400280
	v_mov_b32_e32 v96, 0                                       // 000000003774: 7EC00280
	v_mov_b32_e32 v161, 0                                      // 000000003778: 7F420280
	v_mov_b32_e32 v97, 0                                       // 00000000377C: 7EC20280
	v_mov_b32_e32 v162, 0                                      // 000000003780: 7F440280
	v_mov_b32_e32 v98, 0                                       // 000000003784: 7EC40280
	v_mov_b32_e32 v163, 0                                      // 000000003788: 7F460280
	v_mov_b32_e32 v99, 0                                       // 00000000378C: 7EC60280
	v_mov_b32_e32 v164, 0                                      // 000000003790: 7F480280
	v_mov_b32_e32 v100, 0                                      // 000000003794: 7EC80280
	v_mov_b32_e32 v165, 0                                      // 000000003798: 7F4A0280
	v_mov_b32_e32 v101, 0                                      // 00000000379C: 7ECA0280
	v_mov_b32_e32 v166, 0                                      // 0000000037A0: 7F4C0280
	v_mov_b32_e32 v102, 0                                      // 0000000037A4: 7ECC0280
	v_mov_b32_e32 v167, 0                                      // 0000000037A8: 7F4E0280
	v_mov_b32_e32 v103, 0                                      // 0000000037AC: 7ECE0280
	v_mov_b32_e32 v168, 0                                      // 0000000037B0: 7F500280
	v_mov_b32_e32 v104, 0                                      // 0000000037B4: 7ED00280
	v_mov_b32_e32 v169, 0                                      // 0000000037B8: 7F520280
	v_mov_b32_e32 v105, 0                                      // 0000000037BC: 7ED20280
	v_mov_b32_e32 v170, 0                                      // 0000000037C0: 7F540280
	v_mov_b32_e32 v106, 0                                      // 0000000037C4: 7ED40280
	v_mov_b32_e32 v171, 0                                      // 0000000037C8: 7F560280
	v_mov_b32_e32 v107, 0                                      // 0000000037CC: 7ED60280
	v_mov_b32_e32 v172, 0                                      // 0000000037D0: 7F580280
	v_mov_b32_e32 v108, 0                                      // 0000000037D4: 7ED80280
	v_mov_b32_e32 v173, 0                                      // 0000000037D8: 7F5A0280
	v_mov_b32_e32 v109, 0                                      // 0000000037DC: 7EDA0280
	v_mov_b32_e32 v174, 0                                      // 0000000037E0: 7F5C0280
	v_mov_b32_e32 v110, 0                                      // 0000000037E4: 7EDC0280
	v_mov_b32_e32 v175, 0                                      // 0000000037E8: 7F5E0280
	v_mov_b32_e32 v111, 0                                      // 0000000037EC: 7EDE0280
	v_lshrrev_b32_e32 v50, 4, v0                               // 0000000037F0: 20640084
	v_mul_i32_i24_e32 v3, 34, v50                              // 0000000037F4: 0C0664A2
	v_and_b32_e32 v50, 15, v0                                  // 0000000037F8: 2664008F
	v_mul_i32_i24_e32 v51, 2, v50                              // 0000000037FC: 0C666482
	v_add_u32_e32 v3, v51, v3                                  // 000000003800: 68060733
	s_mul_i32 s60, s7, 0x88                                    // 000000003804: 923CFF07 00000088
	v_add_u32_e32 v3, s60, v3                                  // 00000000380C: 6806063C
	v_lshlrev_b32_e32 v3, 2, v3                                // 000000003810: 24060682
	v_lshrrev_b32_e32 v50, 1, v0                               // 000000003814: 20640081
	v_mul_i32_i24_e32 v4, 34, v50                              // 000000003818: 0C0864A2
	v_and_b32_e32 v51, 1, v0                                   // 00000000381C: 26660081
	v_add_u32_e32 v4, v51, v4                                  // 000000003820: 68080933
	s_mul_i32 s60, s7, 2                                       // 000000003824: 923C8207
	v_add_u32_e32 v4, s60, v4                                  // 000000003828: 6808083C
	v_lshlrev_b32_e32 v4, 2, v4                                // 00000000382C: 24080882
	s_waitcnt vmcnt(24)                                        // 000000003830: BF8C4F78
	s_barrier                                                  // 000000003834: BF8A0000
	ds_read_b128 v[176:179], v2                                // 000000003838: D9FE0000 B0000002
	ds_read_b128 v[180:183], v2 offset:64                      // 000000003840: D9FE0040 B4000002
	ds_read_b128 v[184:187], v2 offset:128                     // 000000003848: D9FE0080 B8000002
	ds_read_b128 v[188:191], v2 offset:192                     // 000000003850: D9FE00C0 BC000002
	ds_read_b128 v[192:195], v2 offset:1024                    // 000000003858: D9FE0400 C0000002
	ds_read_b128 v[196:199], v2 offset:1088                    // 000000003860: D9FE0440 C4000002
	ds_read_b128 v[200:203], v2 offset:1152                    // 000000003868: D9FE0480 C8000002
	ds_read_b128 v[204:207], v2 offset:1216                    // 000000003870: D9FE04C0 CC000002
	s_cmp_lt_i32 s7, 2                                         // 000000003878: BF048207
	s_cbranch_scc0 label_126F                                  // 00000000387C: BF840FCF

0000000000003880 <label_02A0>:
	s_waitcnt vmcnt(16) lgkmcnt(0)                             // 000000003880: BF8C4070
	s_barrier                                                  // 000000003884: BF8A0000
	v_mfma_i32_16x16x32_i8 v[128:131], a[0:1], v[176:177], v[128:131]// 000000003888: D3D70080 0E036100
	v_mfma_i32_16x16x32_i8 v[128:131], a[2:3], v[178:179], v[128:131]// 000000003890: D3D70080 0E036502
	buffer_load_dwordx4 a[96:99], v34, s[92:95], 0 offen       // 000000003898: E05C1000 80976022
	v_mfma_i32_16x16x32_i8 v[128:131], a[4:5], v[180:181], v[128:131]// 0000000038A0: D3D70080 0E036904
	v_mfma_i32_16x16x32_i8 v[128:131], a[6:7], v[182:183], v[128:131]// 0000000038A8: D3D70080 0E036D06
	buffer_load_dword v26, s[20:23], 0 offen lds               // 0000000038B0: E0511000 8005001A
	s_add_u32 m0, 0x100, s51                                   // 0000000038B8: 807C33FF 00000100
	v_mfma_i32_16x16x32_i8 v[128:131], a[8:9], v[184:185], v[128:131]// 0000000038C0: D3D70080 0E037108
	v_mfma_i32_16x16x32_i8 v[128:131], a[10:11], v[186:187], v[128:131]// 0000000038C8: D3D70080 0E03750A
	buffer_load_dwordx4 a[100:103], v34, s[92:95], 0 offen offset:1024// 0000000038D0: E05C1400 80976422
	v_mfma_i32_16x16x32_i8 v[128:131], a[12:13], v[188:189], v[128:131]// 0000000038D8: D3D70080 0E03790C
	v_mfma_i32_16x16x32_i8 v[128:131], a[14:15], v[190:191], v[128:131]// 0000000038E0: D3D70080 0E037D0E
	buffer_load_dword v27, s[20:23], 0 offen lds               // 0000000038E8: E0511000 8005001B
	s_add_u32 m0, 0x200, s51                                   // 0000000038F0: 807C33FF 00000200
	v_mfma_i32_16x16x32_i8 v[132:135], a[0:1], v[192:193], v[132:135]// 0000000038F8: D3D70084 0E138100
	v_mfma_i32_16x16x32_i8 v[132:135], a[2:3], v[194:195], v[132:135]// 000000003900: D3D70084 0E138502
	buffer_load_dwordx4 a[104:107], v34, s[92:95], 0 offen offset:2048// 000000003908: E05C1800 80976822
	v_mfma_i32_16x16x32_i8 v[132:135], a[4:5], v[196:197], v[132:135]// 000000003910: D3D70084 0E138904
	v_mfma_i32_16x16x32_i8 v[132:135], a[6:7], v[198:199], v[132:135]// 000000003918: D3D70084 0E138D06
	buffer_load_dword v28, s[20:23], 0 offen lds               // 000000003920: E0511000 8005001C
	s_add_u32 m0, 0x300, s51                                   // 000000003928: 807C33FF 00000300
	v_mfma_i32_16x16x32_i8 v[132:135], a[8:9], v[200:201], v[132:135]// 000000003930: D3D70084 0E139108
	v_mfma_i32_16x16x32_i8 v[132:135], a[10:11], v[202:203], v[132:135]// 000000003938: D3D70084 0E13950A
	buffer_load_dwordx4 a[108:111], v34, s[92:95], 0 offen offset:3072// 000000003940: E05C1C00 80976C22
	v_mfma_i32_16x16x32_i8 v[132:135], a[12:13], v[204:205], v[132:135]// 000000003948: D3D70084 0E13990C
	v_mfma_i32_16x16x32_i8 v[132:135], a[14:15], v[206:207], v[132:135]// 000000003950: D3D70084 0E139D0E
	buffer_load_dword v29, s[20:23], 0 offen lds               // 000000003958: E0511000 8005001D
	s_add_u32 m0, 0x400, s51                                   // 000000003960: 807C33FF 00000400
	v_mfma_i32_16x16x32_i8 v[136:139], a[16:17], v[176:177], v[136:139]// 000000003968: D3D70088 0E236110
	v_mfma_i32_16x16x32_i8 v[136:139], a[18:19], v[178:179], v[136:139]// 000000003970: D3D70088 0E236512
	buffer_load_dwordx4 a[112:115], v35, s[92:95], 0 offen     // 000000003978: E05C1000 80977023
	v_mfma_i32_16x16x32_i8 v[136:139], a[20:21], v[180:181], v[136:139]// 000000003980: D3D70088 0E236914
	v_mfma_i32_16x16x32_i8 v[136:139], a[22:23], v[182:183], v[136:139]// 000000003988: D3D70088 0E236D16
	buffer_load_dword v30, s[20:23], 0 offen lds               // 000000003990: E0511000 8005001E
	s_add_u32 m0, 0x500, s51                                   // 000000003998: 807C33FF 00000500
	v_mfma_i32_16x16x32_i8 v[136:139], a[24:25], v[184:185], v[136:139]// 0000000039A0: D3D70088 0E237118
	v_mfma_i32_16x16x32_i8 v[136:139], a[26:27], v[186:187], v[136:139]// 0000000039A8: D3D70088 0E23751A
	buffer_load_dwordx4 a[116:119], v35, s[92:95], 0 offen offset:1024// 0000000039B0: E05C1400 80977423
	v_mfma_i32_16x16x32_i8 v[136:139], a[28:29], v[188:189], v[136:139]// 0000000039B8: D3D70088 0E23791C
	v_mfma_i32_16x16x32_i8 v[136:139], a[30:31], v[190:191], v[136:139]// 0000000039C0: D3D70088 0E237D1E
	buffer_load_dword v31, s[20:23], 0 offen lds               // 0000000039C8: E0511000 8005001F
	s_add_u32 m0, 0x600, s51                                   // 0000000039D0: 807C33FF 00000600
	v_mfma_i32_16x16x32_i8 v[140:143], a[16:17], v[192:193], v[140:143]// 0000000039D8: D3D7008C 0E338110
	v_mfma_i32_16x16x32_i8 v[140:143], a[18:19], v[194:195], v[140:143]// 0000000039E0: D3D7008C 0E338512
	buffer_load_dwordx4 a[120:123], v35, s[92:95], 0 offen offset:2048// 0000000039E8: E05C1800 80977823
	v_mfma_i32_16x16x32_i8 v[140:143], a[20:21], v[196:197], v[140:143]// 0000000039F0: D3D7008C 0E338914
	v_mfma_i32_16x16x32_i8 v[140:143], a[22:23], v[198:199], v[140:143]// 0000000039F8: D3D7008C 0E338D16
	buffer_load_dword v32, s[20:23], 0 offen lds               // 000000003A00: E0511000 80050020
	s_add_u32 m0, 0x700, s51                                   // 000000003A08: 807C33FF 00000700
	v_mfma_i32_16x16x32_i8 v[140:143], a[24:25], v[200:201], v[140:143]// 000000003A10: D3D7008C 0E339118
	v_mfma_i32_16x16x32_i8 v[140:143], a[26:27], v[202:203], v[140:143]// 000000003A18: D3D7008C 0E33951A
	buffer_load_dwordx4 a[124:127], v35, s[92:95], 0 offen offset:3072// 000000003A20: E05C1C00 80977C23
	v_mfma_i32_16x16x32_i8 v[140:143], a[28:29], v[204:205], v[140:143]// 000000003A28: D3D7008C 0E33991C
	v_mfma_i32_16x16x32_i8 v[140:143], a[30:31], v[206:207], v[140:143]// 000000003A30: D3D7008C 0E339D1E
	buffer_load_dword v33, s[20:23], 0 offen lds               // 000000003A38: E0511000 80050021
	s_add_u32 m0, 0, s50                                       // 000000003A40: 807C3280
	s_waitcnt vmcnt(28)                                        // 000000003A44: BF8C4F7C
	v_mfma_i32_16x16x32_i8 v[144:147], a[32:33], v[176:177], v[144:147]// 000000003A48: D3D70090 0E436120
	v_mfma_i32_16x16x32_i8 v[144:147], a[34:35], v[178:179], v[144:147]// 000000003A50: D3D70090 0E436522
	buffer_load_dwordx4 a[128:131], v36, s[92:95], 0 offen     // 000000003A58: E05C1000 80978024
	v_mfma_i32_16x16x32_i8 v[144:147], a[36:37], v[180:181], v[144:147]// 000000003A60: D3D70090 0E436924
	v_mfma_i32_16x16x32_i8 v[144:147], a[38:39], v[182:183], v[144:147]// 000000003A68: D3D70090 0E436D26
	v_mfma_i32_16x16x32_i8 v[144:147], a[40:41], v[184:185], v[144:147]// 000000003A70: D3D70090 0E437128
	v_mfma_i32_16x16x32_i8 v[144:147], a[42:43], v[186:187], v[144:147]// 000000003A78: D3D70090 0E43752A
	buffer_load_dwordx4 a[132:135], v36, s[92:95], 0 offen offset:1024// 000000003A80: E05C1400 80978424
	v_mfma_i32_16x16x32_i8 v[144:147], a[44:45], v[188:189], v[144:147]// 000000003A88: D3D70090 0E43792C
	v_mfma_i32_16x16x32_i8 v[144:147], a[46:47], v[190:191], v[144:147]// 000000003A90: D3D70090 0E437D2E
	v_mfma_i32_16x16x32_i8 v[148:151], a[32:33], v[192:193], v[148:151]// 000000003A98: D3D70094 0E538120
	v_mfma_i32_16x16x32_i8 v[148:151], a[34:35], v[194:195], v[148:151]// 000000003AA0: D3D70094 0E538522
	buffer_load_dwordx4 a[136:139], v36, s[92:95], 0 offen offset:2048// 000000003AA8: E05C1800 80978824
	v_mfma_i32_16x16x32_i8 v[148:151], a[36:37], v[196:197], v[148:151]// 000000003AB0: D3D70094 0E538924
	v_mfma_i32_16x16x32_i8 v[148:151], a[38:39], v[198:199], v[148:151]// 000000003AB8: D3D70094 0E538D26
	v_mfma_i32_16x16x32_i8 v[148:151], a[40:41], v[200:201], v[148:151]// 000000003AC0: D3D70094 0E539128
	v_mfma_i32_16x16x32_i8 v[148:151], a[42:43], v[202:203], v[148:151]// 000000003AC8: D3D70094 0E53952A
	buffer_load_dwordx4 a[140:143], v36, s[92:95], 0 offen offset:3072// 000000003AD0: E05C1C00 80978C24
	v_mfma_i32_16x16x32_i8 v[148:151], a[44:45], v[204:205], v[148:151]// 000000003AD8: D3D70094 0E53992C
	v_mfma_i32_16x16x32_i8 v[148:151], a[46:47], v[206:207], v[148:151]// 000000003AE0: D3D70094 0E539D2E
	s_waitcnt vmcnt(28)                                        // 000000003AE8: BF8C4F7C
	v_mfma_i32_16x16x32_i8 v[152:155], a[48:49], v[176:177], v[152:155]// 000000003AEC: D3D70098 0E636130
	v_mfma_i32_16x16x32_i8 v[152:155], a[50:51], v[178:179], v[152:155]// 000000003AF4: D3D70098 0E636532
	buffer_load_dwordx4 a[144:147], v37, s[92:95], 0 offen     // 000000003AFC: E05C1000 80979025
	v_mfma_i32_16x16x32_i8 v[152:155], a[52:53], v[180:181], v[152:155]// 000000003B04: D3D70098 0E636934
	v_mfma_i32_16x16x32_i8 v[152:155], a[54:55], v[182:183], v[152:155]// 000000003B0C: D3D70098 0E636D36
	v_mfma_i32_16x16x32_i8 v[152:155], a[56:57], v[184:185], v[152:155]// 000000003B14: D3D70098 0E637138
	v_mfma_i32_16x16x32_i8 v[152:155], a[58:59], v[186:187], v[152:155]// 000000003B1C: D3D70098 0E63753A
	buffer_load_dwordx4 a[148:151], v37, s[92:95], 0 offen offset:1024// 000000003B24: E05C1400 80979425
	v_mfma_i32_16x16x32_i8 v[152:155], a[60:61], v[188:189], v[152:155]// 000000003B2C: D3D70098 0E63793C
	v_mfma_i32_16x16x32_i8 v[152:155], a[62:63], v[190:191], v[152:155]// 000000003B34: D3D70098 0E637D3E
	v_mfma_i32_16x16x32_i8 v[156:159], a[48:49], v[192:193], v[156:159]// 000000003B3C: D3D7009C 0E738130
	v_mfma_i32_16x16x32_i8 v[156:159], a[50:51], v[194:195], v[156:159]// 000000003B44: D3D7009C 0E738532
	buffer_load_dwordx4 a[152:155], v37, s[92:95], 0 offen offset:2048// 000000003B4C: E05C1800 80979825
	v_mfma_i32_16x16x32_i8 v[156:159], a[52:53], v[196:197], v[156:159]// 000000003B54: D3D7009C 0E738934
	v_mfma_i32_16x16x32_i8 v[156:159], a[54:55], v[198:199], v[156:159]// 000000003B5C: D3D7009C 0E738D36
	v_mfma_i32_16x16x32_i8 v[156:159], a[56:57], v[200:201], v[156:159]// 000000003B64: D3D7009C 0E739138
	v_mfma_i32_16x16x32_i8 v[156:159], a[58:59], v[202:203], v[156:159]// 000000003B6C: D3D7009C 0E73953A
	buffer_load_dwordx4 a[156:159], v37, s[92:95], 0 offen offset:3072// 000000003B74: E05C1C00 80979C25
	v_mfma_i32_16x16x32_i8 v[156:159], a[60:61], v[204:205], v[156:159]// 000000003B7C: D3D7009C 0E73993C
	v_mfma_i32_16x16x32_i8 v[156:159], a[62:63], v[206:207], v[156:159]// 000000003B84: D3D7009C 0E739D3E
	s_waitcnt vmcnt(28)                                        // 000000003B8C: BF8C4F7C
	v_mfma_i32_16x16x32_i8 v[160:163], a[64:65], v[176:177], v[160:163]// 000000003B90: D3D700A0 0E836140
	v_mfma_i32_16x16x32_i8 v[160:163], a[66:67], v[178:179], v[160:163]// 000000003B98: D3D700A0 0E836542
	buffer_load_dwordx4 a[160:163], v38, s[92:95], 0 offen     // 000000003BA0: E05C1000 8097A026
	v_mfma_i32_16x16x32_i8 v[160:163], a[68:69], v[180:181], v[160:163]// 000000003BA8: D3D700A0 0E836944
	v_mfma_i32_16x16x32_i8 v[160:163], a[70:71], v[182:183], v[160:163]// 000000003BB0: D3D700A0 0E836D46
	v_mfma_i32_16x16x32_i8 v[160:163], a[72:73], v[184:185], v[160:163]// 000000003BB8: D3D700A0 0E837148
	v_mfma_i32_16x16x32_i8 v[160:163], a[74:75], v[186:187], v[160:163]// 000000003BC0: D3D700A0 0E83754A
	buffer_load_dwordx4 a[164:167], v38, s[92:95], 0 offen offset:1024// 000000003BC8: E05C1400 8097A426
	v_mfma_i32_16x16x32_i8 v[160:163], a[76:77], v[188:189], v[160:163]// 000000003BD0: D3D700A0 0E83794C
	v_mfma_i32_16x16x32_i8 v[160:163], a[78:79], v[190:191], v[160:163]// 000000003BD8: D3D700A0 0E837D4E
	v_mfma_i32_16x16x32_i8 v[164:167], a[64:65], v[192:193], v[164:167]// 000000003BE0: D3D700A4 0E938140
	v_mfma_i32_16x16x32_i8 v[164:167], a[66:67], v[194:195], v[164:167]// 000000003BE8: D3D700A4 0E938542
	buffer_load_dwordx4 a[168:171], v38, s[92:95], 0 offen offset:2048// 000000003BF0: E05C1800 8097A826
	v_mfma_i32_16x16x32_i8 v[164:167], a[68:69], v[196:197], v[164:167]// 000000003BF8: D3D700A4 0E938944
	v_mfma_i32_16x16x32_i8 v[164:167], a[70:71], v[198:199], v[164:167]// 000000003C00: D3D700A4 0E938D46
	v_mfma_i32_16x16x32_i8 v[164:167], a[72:73], v[200:201], v[164:167]// 000000003C08: D3D700A4 0E939148
	v_mfma_i32_16x16x32_i8 v[164:167], a[74:75], v[202:203], v[164:167]// 000000003C10: D3D700A4 0E93954A
	buffer_load_dwordx4 a[172:175], v38, s[92:95], 0 offen offset:3072// 000000003C18: E05C1C00 8097AC26
	v_mfma_i32_16x16x32_i8 v[164:167], a[76:77], v[204:205], v[164:167]// 000000003C20: D3D700A4 0E93994C
	v_mfma_i32_16x16x32_i8 v[164:167], a[78:79], v[206:207], v[164:167]// 000000003C28: D3D700A4 0E939D4E
	s_waitcnt vmcnt(28)                                        // 000000003C30: BF8C4F7C
	v_mfma_i32_16x16x32_i8 v[168:171], a[80:81], v[176:177], v[168:171]// 000000003C34: D3D700A8 0EA36150
	v_mfma_i32_16x16x32_i8 v[168:171], a[82:83], v[178:179], v[168:171]// 000000003C3C: D3D700A8 0EA36552
	buffer_load_dwordx4 a[176:179], v39, s[92:95], 0 offen     // 000000003C44: E05C1000 8097B027
	v_mfma_i32_16x16x32_i8 v[168:171], a[84:85], v[180:181], v[168:171]// 000000003C4C: D3D700A8 0EA36954
	v_mfma_i32_16x16x32_i8 v[168:171], a[86:87], v[182:183], v[168:171]// 000000003C54: D3D700A8 0EA36D56
	v_mfma_i32_16x16x32_i8 v[168:171], a[88:89], v[184:185], v[168:171]// 000000003C5C: D3D700A8 0EA37158
	v_mfma_i32_16x16x32_i8 v[168:171], a[90:91], v[186:187], v[168:171]// 000000003C64: D3D700A8 0EA3755A
	buffer_load_dwordx4 a[180:183], v39, s[92:95], 0 offen offset:1024// 000000003C6C: E05C1400 8097B427
	v_mfma_i32_16x16x32_i8 v[168:171], a[92:93], v[188:189], v[168:171]// 000000003C74: D3D700A8 0EA3795C
	v_mfma_i32_16x16x32_i8 v[168:171], a[94:95], v[190:191], v[168:171]// 000000003C7C: D3D700A8 0EA37D5E
	v_mfma_i32_16x16x32_i8 v[172:175], a[80:81], v[192:193], v[172:175]// 000000003C84: D3D700AC 0EB38150
	v_mfma_i32_16x16x32_i8 v[172:175], a[82:83], v[194:195], v[172:175]// 000000003C8C: D3D700AC 0EB38552
	buffer_load_dwordx4 a[184:187], v39, s[92:95], 0 offen offset:2048// 000000003C94: E05C1800 8097B827
	v_mfma_i32_16x16x32_i8 v[172:175], a[84:85], v[196:197], v[172:175]// 000000003C9C: D3D700AC 0EB38954
	v_mfma_i32_16x16x32_i8 v[172:175], a[86:87], v[198:199], v[172:175]// 000000003CA4: D3D700AC 0EB38D56
	v_mfma_i32_16x16x32_i8 v[172:175], a[88:89], v[200:201], v[172:175]// 000000003CAC: D3D700AC 0EB39158
	v_mfma_i32_16x16x32_i8 v[172:175], a[90:91], v[202:203], v[172:175]// 000000003CB4: D3D700AC 0EB3955A
	buffer_load_dwordx4 a[188:191], v39, s[92:95], 0 offen offset:3072// 000000003CBC: E05C1C00 8097BC27
	v_mfma_i32_16x16x32_i8 v[172:175], a[92:93], v[204:205], v[172:175]// 000000003CC4: D3D700AC 0EB3995C
	v_mfma_i32_16x16x32_i8 v[172:175], a[94:95], v[206:207], v[172:175]// 000000003CCC: D3D700AC 0EB39D5E
	s_waitcnt vmcnt(16)                                        // 000000003CD4: BF8C4F70
	s_barrier                                                  // 000000003CD8: BF8A0000
	v_mfma_i32_16x16x32_i8 v[64:67], a[96:97], v[176:177], v[64:67]// 000000003CDC: D3D70040 0D036160
	v_mfma_i32_16x16x32_i8 v[64:67], a[98:99], v[178:179], v[64:67]// 000000003CE4: D3D70040 0D036562
	buffer_load_dwordx4 a[0:3], v34, s[24:27], 0 offen         // 000000003CEC: E05C1000 80860022
	v_mfma_i32_16x16x32_i8 v[64:67], a[100:101], v[180:181], v[64:67]// 000000003CF4: D3D70040 0D036964
	v_mfma_i32_16x16x32_i8 v[64:67], a[102:103], v[182:183], v[64:67]// 000000003CFC: D3D70040 0D036D66
	v_mfma_i32_16x16x32_i8 v[64:67], a[104:105], v[184:185], v[64:67]// 000000003D04: D3D70040 0D037168
	v_mfma_i32_16x16x32_i8 v[64:67], a[106:107], v[186:187], v[64:67]// 000000003D0C: D3D70040 0D03756A
	buffer_load_dwordx4 a[4:7], v34, s[24:27], 0 offen offset:1024// 000000003D14: E05C1400 80860422
	v_mfma_i32_16x16x32_i8 v[64:67], a[108:109], v[188:189], v[64:67]// 000000003D1C: D3D70040 0D03796C
	v_mfma_i32_16x16x32_i8 v[64:67], a[110:111], v[190:191], v[64:67]// 000000003D24: D3D70040 0D037D6E
	v_mfma_i32_16x16x32_i8 v[68:71], a[96:97], v[192:193], v[68:71]// 000000003D2C: D3D70044 0D138160
	v_mfma_i32_16x16x32_i8 v[68:71], a[98:99], v[194:195], v[68:71]// 000000003D34: D3D70044 0D138562
	buffer_load_dwordx4 a[8:11], v34, s[24:27], 0 offen offset:2048// 000000003D3C: E05C1800 80860822
	v_mfma_i32_16x16x32_i8 v[68:71], a[100:101], v[196:197], v[68:71]// 000000003D44: D3D70044 0D138964
	v_mfma_i32_16x16x32_i8 v[68:71], a[102:103], v[198:199], v[68:71]// 000000003D4C: D3D70044 0D138D66
	v_mfma_i32_16x16x32_i8 v[68:71], a[104:105], v[200:201], v[68:71]// 000000003D54: D3D70044 0D139168
	v_mfma_i32_16x16x32_i8 v[68:71], a[106:107], v[202:203], v[68:71]// 000000003D5C: D3D70044 0D13956A
	buffer_load_dwordx4 a[12:15], v34, s[24:27], 0 offen offset:3072// 000000003D64: E05C1C00 80860C22
	v_mfma_i32_16x16x32_i8 v[68:71], a[108:109], v[204:205], v[68:71]// 000000003D6C: D3D70044 0D13996C
	v_mfma_i32_16x16x32_i8 v[68:71], a[110:111], v[206:207], v[68:71]// 000000003D74: D3D70044 0D139D6E
	v_mfma_i32_16x16x32_i8 v[72:75], a[112:113], v[176:177], v[72:75]// 000000003D7C: D3D70048 0D236170
	v_mfma_i32_16x16x32_i8 v[72:75], a[114:115], v[178:179], v[72:75]// 000000003D84: D3D70048 0D236572
	buffer_load_dwordx4 a[16:19], v35, s[24:27], 0 offen       // 000000003D8C: E05C1000 80861023
	v_mfma_i32_16x16x32_i8 v[72:75], a[116:117], v[180:181], v[72:75]// 000000003D94: D3D70048 0D236974
	v_mfma_i32_16x16x32_i8 v[72:75], a[118:119], v[182:183], v[72:75]// 000000003D9C: D3D70048 0D236D76
	v_mfma_i32_16x16x32_i8 v[72:75], a[120:121], v[184:185], v[72:75]// 000000003DA4: D3D70048 0D237178
	v_mfma_i32_16x16x32_i8 v[72:75], a[122:123], v[186:187], v[72:75]// 000000003DAC: D3D70048 0D23757A
	buffer_load_dwordx4 a[20:23], v35, s[24:27], 0 offen offset:1024// 000000003DB4: E05C1400 80861423
	v_mfma_i32_16x16x32_i8 v[72:75], a[124:125], v[188:189], v[72:75]// 000000003DBC: D3D70048 0D23797C
	v_mfma_i32_16x16x32_i8 v[72:75], a[126:127], v[190:191], v[72:75]// 000000003DC4: D3D70048 0D237D7E
	v_mfma_i32_16x16x32_i8 v[76:79], a[112:113], v[192:193], v[76:79]// 000000003DCC: D3D7004C 0D338170
	v_mfma_i32_16x16x32_i8 v[76:79], a[114:115], v[194:195], v[76:79]// 000000003DD4: D3D7004C 0D338572
	buffer_load_dwordx4 a[24:27], v35, s[24:27], 0 offen offset:2048// 000000003DDC: E05C1800 80861823
	v_mfma_i32_16x16x32_i8 v[76:79], a[116:117], v[196:197], v[76:79]// 000000003DE4: D3D7004C 0D338974
	v_mfma_i32_16x16x32_i8 v[76:79], a[118:119], v[198:199], v[76:79]// 000000003DEC: D3D7004C 0D338D76
	v_mfma_i32_16x16x32_i8 v[76:79], a[120:121], v[200:201], v[76:79]// 000000003DF4: D3D7004C 0D339178
	v_mfma_i32_16x16x32_i8 v[76:79], a[122:123], v[202:203], v[76:79]// 000000003DFC: D3D7004C 0D33957A
	buffer_load_dwordx4 a[28:31], v35, s[24:27], 0 offen offset:3072// 000000003E04: E05C1C00 80861C23
	v_mfma_i32_16x16x32_i8 v[76:79], a[124:125], v[204:205], v[76:79]// 000000003E0C: D3D7004C 0D33997C
	v_mfma_i32_16x16x32_i8 v[76:79], a[126:127], v[206:207], v[76:79]// 000000003E14: D3D7004C 0D339D7E
	s_waitcnt vmcnt(20)                                        // 000000003E1C: BF8C4F74
	v_mfma_i32_16x16x32_i8 v[80:83], a[128:129], v[176:177], v[80:83]// 000000003E20: D3D70050 0D436180
	v_mfma_i32_16x16x32_i8 v[80:83], a[130:131], v[178:179], v[80:83]// 000000003E28: D3D70050 0D436582
	buffer_load_dwordx4 a[32:35], v36, s[24:27], 0 offen       // 000000003E30: E05C1000 80862024
	v_mfma_i32_16x16x32_i8 v[80:83], a[132:133], v[180:181], v[80:83]// 000000003E38: D3D70050 0D436984
	v_mfma_i32_16x16x32_i8 v[80:83], a[134:135], v[182:183], v[80:83]// 000000003E40: D3D70050 0D436D86
	ds_read_b128 v[208:211], v2 offset:8320                    // 000000003E48: D9FE2080 D0000002
	v_mfma_i32_16x16x32_i8 v[80:83], a[136:137], v[184:185], v[80:83]// 000000003E50: D3D70050 0D437188
	v_mfma_i32_16x16x32_i8 v[80:83], a[138:139], v[186:187], v[80:83]// 000000003E58: D3D70050 0D43758A
	buffer_load_dwordx4 a[36:39], v36, s[24:27], 0 offen offset:1024// 000000003E60: E05C1400 80862424
	v_mfma_i32_16x16x32_i8 v[80:83], a[140:141], v[188:189], v[80:83]// 000000003E68: D3D70050 0D43798C
	v_mfma_i32_16x16x32_i8 v[80:83], a[142:143], v[190:191], v[80:83]// 000000003E70: D3D70050 0D437D8E
	ds_read_b128 v[212:215], v2 offset:8384                    // 000000003E78: D9FE20C0 D4000002
	v_mfma_i32_16x16x32_i8 v[84:87], a[128:129], v[192:193], v[84:87]// 000000003E80: D3D70054 0D538180
	v_mfma_i32_16x16x32_i8 v[84:87], a[130:131], v[194:195], v[84:87]// 000000003E88: D3D70054 0D538582
	buffer_load_dwordx4 a[40:43], v36, s[24:27], 0 offen offset:2048// 000000003E90: E05C1800 80862824
	v_mfma_i32_16x16x32_i8 v[84:87], a[132:133], v[196:197], v[84:87]// 000000003E98: D3D70054 0D538984
	v_mfma_i32_16x16x32_i8 v[84:87], a[134:135], v[198:199], v[84:87]// 000000003EA0: D3D70054 0D538D86
	ds_read_b128 v[216:219], v2 offset:8448                    // 000000003EA8: D9FE2100 D8000002
	v_mfma_i32_16x16x32_i8 v[84:87], a[136:137], v[200:201], v[84:87]// 000000003EB0: D3D70054 0D539188
	v_mfma_i32_16x16x32_i8 v[84:87], a[138:139], v[202:203], v[84:87]// 000000003EB8: D3D70054 0D53958A
	buffer_load_dwordx4 a[44:47], v36, s[24:27], 0 offen offset:3072// 000000003EC0: E05C1C00 80862C24
	v_mfma_i32_16x16x32_i8 v[84:87], a[140:141], v[204:205], v[84:87]// 000000003EC8: D3D70054 0D53998C
	v_mfma_i32_16x16x32_i8 v[84:87], a[142:143], v[206:207], v[84:87]// 000000003ED0: D3D70054 0D539D8E
	ds_read_b128 v[220:223], v2 offset:8512                    // 000000003ED8: D9FE2140 DC000002
	s_waitcnt vmcnt(20)                                        // 000000003EE0: BF8C4F74
	v_mfma_i32_16x16x32_i8 v[88:91], a[144:145], v[176:177], v[88:91]// 000000003EE4: D3D70058 0D636190
	v_mfma_i32_16x16x32_i8 v[88:91], a[146:147], v[178:179], v[88:91]// 000000003EEC: D3D70058 0D636592
	buffer_load_dwordx4 a[48:51], v37, s[24:27], 0 offen       // 000000003EF4: E05C1000 80863025
	v_mfma_i32_16x16x32_i8 v[88:91], a[148:149], v[180:181], v[88:91]// 000000003EFC: D3D70058 0D636994
	v_mfma_i32_16x16x32_i8 v[88:91], a[150:151], v[182:183], v[88:91]// 000000003F04: D3D70058 0D636D96
	ds_read_b128 v[224:227], v2 offset:9344                    // 000000003F0C: D9FE2480 E0000002
	v_mfma_i32_16x16x32_i8 v[88:91], a[152:153], v[184:185], v[88:91]// 000000003F14: D3D70058 0D637198
	v_mfma_i32_16x16x32_i8 v[88:91], a[154:155], v[186:187], v[88:91]// 000000003F1C: D3D70058 0D63759A
	buffer_load_dwordx4 a[52:55], v37, s[24:27], 0 offen offset:1024// 000000003F24: E05C1400 80863425
	v_mfma_i32_16x16x32_i8 v[88:91], a[156:157], v[188:189], v[88:91]// 000000003F2C: D3D70058 0D63799C
	v_mfma_i32_16x16x32_i8 v[88:91], a[158:159], v[190:191], v[88:91]// 000000003F34: D3D70058 0D637D9E
	ds_read_b128 v[228:231], v2 offset:9408                    // 000000003F3C: D9FE24C0 E4000002
	v_mfma_i32_16x16x32_i8 v[92:95], a[144:145], v[192:193], v[92:95]// 000000003F44: D3D7005C 0D738190
	v_mfma_i32_16x16x32_i8 v[92:95], a[146:147], v[194:195], v[92:95]// 000000003F4C: D3D7005C 0D738592
	buffer_load_dwordx4 a[56:59], v37, s[24:27], 0 offen offset:2048// 000000003F54: E05C1800 80863825
	v_mfma_i32_16x16x32_i8 v[92:95], a[148:149], v[196:197], v[92:95]// 000000003F5C: D3D7005C 0D738994
	v_mfma_i32_16x16x32_i8 v[92:95], a[150:151], v[198:199], v[92:95]// 000000003F64: D3D7005C 0D738D96
	ds_read_b128 v[232:235], v2 offset:9472                    // 000000003F6C: D9FE2500 E8000002
	v_mfma_i32_16x16x32_i8 v[92:95], a[152:153], v[200:201], v[92:95]// 000000003F74: D3D7005C 0D739198
	v_mfma_i32_16x16x32_i8 v[92:95], a[154:155], v[202:203], v[92:95]// 000000003F7C: D3D7005C 0D73959A
	buffer_load_dwordx4 a[60:63], v37, s[24:27], 0 offen offset:3072// 000000003F84: E05C1C00 80863C25
	v_mfma_i32_16x16x32_i8 v[92:95], a[156:157], v[204:205], v[92:95]// 000000003F8C: D3D7005C 0D73999C
	v_mfma_i32_16x16x32_i8 v[92:95], a[158:159], v[206:207], v[92:95]// 000000003F94: D3D7005C 0D739D9E
	ds_read_b128 v[236:239], v2 offset:9536                    // 000000003F9C: D9FE2540 EC000002
	s_waitcnt vmcnt(20)                                        // 000000003FA4: BF8C4F74
	v_mfma_i32_16x16x32_i8 v[96:99], a[160:161], v[176:177], v[96:99]// 000000003FA8: D3D70060 0D8361A0
	v_mfma_i32_16x16x32_i8 v[96:99], a[162:163], v[178:179], v[96:99]// 000000003FB0: D3D70060 0D8365A2
	buffer_load_dwordx4 a[64:67], v38, s[24:27], 0 offen       // 000000003FB8: E05C1000 80864026
	v_mfma_i32_16x16x32_i8 v[96:99], a[164:165], v[180:181], v[96:99]// 000000003FC0: D3D70060 0D8369A4
	v_mfma_i32_16x16x32_i8 v[96:99], a[166:167], v[182:183], v[96:99]// 000000003FC8: D3D70060 0D836DA6
	v_mfma_i32_16x16x32_i8 v[96:99], a[168:169], v[184:185], v[96:99]// 000000003FD0: D3D70060 0D8371A8
	v_mfma_i32_16x16x32_i8 v[96:99], a[170:171], v[186:187], v[96:99]// 000000003FD8: D3D70060 0D8375AA
	buffer_load_dwordx4 a[68:71], v38, s[24:27], 0 offen offset:1024// 000000003FE0: E05C1400 80864426
	v_mfma_i32_16x16x32_i8 v[96:99], a[172:173], v[188:189], v[96:99]// 000000003FE8: D3D70060 0D8379AC
	v_mfma_i32_16x16x32_i8 v[96:99], a[174:175], v[190:191], v[96:99]// 000000003FF0: D3D70060 0D837DAE
	v_mfma_i32_16x16x32_i8 v[100:103], a[160:161], v[192:193], v[100:103]// 000000003FF8: D3D70064 0D9381A0
	v_mfma_i32_16x16x32_i8 v[100:103], a[162:163], v[194:195], v[100:103]// 000000004000: D3D70064 0D9385A2
	buffer_load_dwordx4 a[72:75], v38, s[24:27], 0 offen offset:2048// 000000004008: E05C1800 80864826
	v_mfma_i32_16x16x32_i8 v[100:103], a[164:165], v[196:197], v[100:103]// 000000004010: D3D70064 0D9389A4
	v_mfma_i32_16x16x32_i8 v[100:103], a[166:167], v[198:199], v[100:103]// 000000004018: D3D70064 0D938DA6
	v_mfma_i32_16x16x32_i8 v[100:103], a[168:169], v[200:201], v[100:103]// 000000004020: D3D70064 0D9391A8
	v_mfma_i32_16x16x32_i8 v[100:103], a[170:171], v[202:203], v[100:103]// 000000004028: D3D70064 0D9395AA
	buffer_load_dwordx4 a[76:79], v38, s[24:27], 0 offen offset:3072// 000000004030: E05C1C00 80864C26
	v_mfma_i32_16x16x32_i8 v[100:103], a[172:173], v[204:205], v[100:103]// 000000004038: D3D70064 0D9399AC
	v_mfma_i32_16x16x32_i8 v[100:103], a[174:175], v[206:207], v[100:103]// 000000004040: D3D70064 0D939DAE
	s_waitcnt vmcnt(20)                                        // 000000004048: BF8C4F74
	v_mfma_i32_16x16x32_i8 v[104:107], a[176:177], v[176:177], v[104:107]// 00000000404C: D3D70068 0DA361B0
	v_mfma_i32_16x16x32_i8 v[104:107], a[178:179], v[178:179], v[104:107]// 000000004054: D3D70068 0DA365B2
	buffer_load_dwordx4 a[80:83], v39, s[24:27], 0 offen       // 00000000405C: E05C1000 80865027
	v_mfma_i32_16x16x32_i8 v[104:107], a[180:181], v[180:181], v[104:107]// 000000004064: D3D70068 0DA369B4
	v_mfma_i32_16x16x32_i8 v[104:107], a[182:183], v[182:183], v[104:107]// 00000000406C: D3D70068 0DA36DB6
	v_mfma_i32_16x16x32_i8 v[104:107], a[184:185], v[184:185], v[104:107]// 000000004074: D3D70068 0DA371B8
	v_mfma_i32_16x16x32_i8 v[104:107], a[186:187], v[186:187], v[104:107]// 00000000407C: D3D70068 0DA375BA
	buffer_load_dwordx4 a[84:87], v39, s[24:27], 0 offen offset:1024// 000000004084: E05C1400 80865427
	v_mfma_i32_16x16x32_i8 v[104:107], a[188:189], v[188:189], v[104:107]// 00000000408C: D3D70068 0DA379BC
	v_mfma_i32_16x16x32_i8 v[104:107], a[190:191], v[190:191], v[104:107]// 000000004094: D3D70068 0DA37DBE
	v_mfma_i32_16x16x32_i8 v[108:111], a[176:177], v[192:193], v[108:111]// 00000000409C: D3D7006C 0DB381B0
	v_mfma_i32_16x16x32_i8 v[108:111], a[178:179], v[194:195], v[108:111]// 0000000040A4: D3D7006C 0DB385B2
	buffer_load_dwordx4 a[88:91], v39, s[24:27], 0 offen offset:2048// 0000000040AC: E05C1800 80865827
	v_mfma_i32_16x16x32_i8 v[108:111], a[180:181], v[196:197], v[108:111]// 0000000040B4: D3D7006C 0DB389B4
	v_mfma_i32_16x16x32_i8 v[108:111], a[182:183], v[198:199], v[108:111]// 0000000040BC: D3D7006C 0DB38DB6
	v_mfma_i32_16x16x32_i8 v[108:111], a[184:185], v[200:201], v[108:111]// 0000000040C4: D3D7006C 0DB391B8
	v_mfma_i32_16x16x32_i8 v[108:111], a[186:187], v[202:203], v[108:111]// 0000000040CC: D3D7006C 0DB395BA
	buffer_load_dwordx4 a[92:95], v39, s[24:27], 0 offen offset:3072// 0000000040D4: E05C1C00 80865C27
	v_mfma_i32_16x16x32_i8 v[108:111], a[188:189], v[204:205], v[108:111]// 0000000040DC: D3D7006C 0DB399BC
	v_mfma_i32_16x16x32_i8 v[108:111], a[190:191], v[206:207], v[108:111]// 0000000040E4: D3D7006C 0DB39DBE
	s_add_u32 s60, 0x200, s80                                  // 0000000040EC: 803C50FF 00000200
	s_cmp_lt_u32 s60, s81                                      // 0000000040F4: BF0A513C
	s_cselect_b32 s57, s57, 0                                  // 0000000040F8: 85398039
	s_add_u32 s60, 0x200, s80                                  // 0000000040FC: 803C50FF 00000200
	s_cmp_lt_u32 s60, s81                                      // 000000004104: BF0A513C
	s_cselect_b32 s58, s58, 0                                  // 000000004108: 853A803A
	s_add_u32 s20, s57, s20                                    // 00000000410C: 80141439
	s_addc_u32 s21, 0, s21                                     // 000000004110: 82151580
	s_add_u32 s24, s58, s24                                    // 000000004114: 8018183A
	s_addc_u32 s25, 0, s25                                     // 000000004118: 82191980
	s_add_u32 s92, s90, s92                                    // 00000000411C: 805C5C5A
	s_addc_u32 s93, 0, s93                                     // 000000004120: 825D5D80
	s_addk_i32 s80, 0x100                                      // 000000004124: B7500100
	s_cmp_lt_i32 s80, s81                                      // 000000004128: BF045150
	s_cbranch_scc0 label_06F9                                  // 00000000412C: BF84022D
	s_waitcnt vmcnt(16) lgkmcnt(0)                             // 000000004130: BF8C4070
	s_barrier                                                  // 000000004134: BF8A0000
	v_mfma_i32_16x16x32_i8 v[128:131], a[0:1], v[208:209], v[128:131]// 000000004138: D3D70080 0E03A100
	v_mfma_i32_16x16x32_i8 v[128:131], a[2:3], v[210:211], v[128:131]// 000000004140: D3D70080 0E03A502
	buffer_load_dwordx4 a[96:99], v34, s[92:95], 0 offen       // 000000004148: E05C1000 80976022
	v_mfma_i32_16x16x32_i8 v[128:131], a[4:5], v[212:213], v[128:131]// 000000004150: D3D70080 0E03A904
	v_mfma_i32_16x16x32_i8 v[128:131], a[6:7], v[214:215], v[128:131]// 000000004158: D3D70080 0E03AD06
	buffer_load_dword v26, s[20:23], 0 offen lds               // 000000004160: E0511000 8005001A
	s_add_u32 m0, 0x100, s50                                   // 000000004168: 807C32FF 00000100
	v_mfma_i32_16x16x32_i8 v[128:131], a[8:9], v[216:217], v[128:131]// 000000004170: D3D70080 0E03B108
	v_mfma_i32_16x16x32_i8 v[128:131], a[10:11], v[218:219], v[128:131]// 000000004178: D3D70080 0E03B50A
	buffer_load_dwordx4 a[100:103], v34, s[92:95], 0 offen offset:1024// 000000004180: E05C1400 80976422
	v_mfma_i32_16x16x32_i8 v[128:131], a[12:13], v[220:221], v[128:131]// 000000004188: D3D70080 0E03B90C
	v_mfma_i32_16x16x32_i8 v[128:131], a[14:15], v[222:223], v[128:131]// 000000004190: D3D70080 0E03BD0E
	buffer_load_dword v27, s[20:23], 0 offen lds               // 000000004198: E0511000 8005001B
	s_add_u32 m0, 0x200, s50                                   // 0000000041A0: 807C32FF 00000200
	v_mfma_i32_16x16x32_i8 v[132:135], a[0:1], v[224:225], v[132:135]// 0000000041A8: D3D70084 0E13C100
	v_mfma_i32_16x16x32_i8 v[132:135], a[2:3], v[226:227], v[132:135]// 0000000041B0: D3D70084 0E13C502
	buffer_load_dwordx4 a[104:107], v34, s[92:95], 0 offen offset:2048// 0000000041B8: E05C1800 80976822
	v_mfma_i32_16x16x32_i8 v[132:135], a[4:5], v[228:229], v[132:135]// 0000000041C0: D3D70084 0E13C904
	v_mfma_i32_16x16x32_i8 v[132:135], a[6:7], v[230:231], v[132:135]// 0000000041C8: D3D70084 0E13CD06
	buffer_load_dword v28, s[20:23], 0 offen lds               // 0000000041D0: E0511000 8005001C
	s_add_u32 m0, 0x300, s50                                   // 0000000041D8: 807C32FF 00000300
	v_mfma_i32_16x16x32_i8 v[132:135], a[8:9], v[232:233], v[132:135]// 0000000041E0: D3D70084 0E13D108
	v_mfma_i32_16x16x32_i8 v[132:135], a[10:11], v[234:235], v[132:135]// 0000000041E8: D3D70084 0E13D50A
	buffer_load_dwordx4 a[108:111], v34, s[92:95], 0 offen offset:3072// 0000000041F0: E05C1C00 80976C22
	v_mfma_i32_16x16x32_i8 v[132:135], a[12:13], v[236:237], v[132:135]// 0000000041F8: D3D70084 0E13D90C
	v_mfma_i32_16x16x32_i8 v[132:135], a[14:15], v[238:239], v[132:135]// 000000004200: D3D70084 0E13DD0E
	buffer_load_dword v29, s[20:23], 0 offen lds               // 000000004208: E0511000 8005001D
	s_add_u32 m0, 0x400, s50                                   // 000000004210: 807C32FF 00000400
	v_mfma_i32_16x16x32_i8 v[136:139], a[16:17], v[208:209], v[136:139]// 000000004218: D3D70088 0E23A110
	v_mfma_i32_16x16x32_i8 v[136:139], a[18:19], v[210:211], v[136:139]// 000000004220: D3D70088 0E23A512
	buffer_load_dwordx4 a[112:115], v35, s[92:95], 0 offen     // 000000004228: E05C1000 80977023
	v_mfma_i32_16x16x32_i8 v[136:139], a[20:21], v[212:213], v[136:139]// 000000004230: D3D70088 0E23A914
	v_mfma_i32_16x16x32_i8 v[136:139], a[22:23], v[214:215], v[136:139]// 000000004238: D3D70088 0E23AD16
	buffer_load_dword v30, s[20:23], 0 offen lds               // 000000004240: E0511000 8005001E
	s_add_u32 m0, 0x500, s50                                   // 000000004248: 807C32FF 00000500
	v_mfma_i32_16x16x32_i8 v[136:139], a[24:25], v[216:217], v[136:139]// 000000004250: D3D70088 0E23B118
	v_mfma_i32_16x16x32_i8 v[136:139], a[26:27], v[218:219], v[136:139]// 000000004258: D3D70088 0E23B51A
	buffer_load_dwordx4 a[116:119], v35, s[92:95], 0 offen offset:1024// 000000004260: E05C1400 80977423
	v_mfma_i32_16x16x32_i8 v[136:139], a[28:29], v[220:221], v[136:139]// 000000004268: D3D70088 0E23B91C
	v_mfma_i32_16x16x32_i8 v[136:139], a[30:31], v[222:223], v[136:139]// 000000004270: D3D70088 0E23BD1E
	buffer_load_dword v31, s[20:23], 0 offen lds               // 000000004278: E0511000 8005001F
	s_add_u32 m0, 0x600, s50                                   // 000000004280: 807C32FF 00000600
	v_mfma_i32_16x16x32_i8 v[140:143], a[16:17], v[224:225], v[140:143]// 000000004288: D3D7008C 0E33C110
	v_mfma_i32_16x16x32_i8 v[140:143], a[18:19], v[226:227], v[140:143]// 000000004290: D3D7008C 0E33C512
	buffer_load_dwordx4 a[120:123], v35, s[92:95], 0 offen offset:2048// 000000004298: E05C1800 80977823
	v_mfma_i32_16x16x32_i8 v[140:143], a[20:21], v[228:229], v[140:143]// 0000000042A0: D3D7008C 0E33C914
	v_mfma_i32_16x16x32_i8 v[140:143], a[22:23], v[230:231], v[140:143]// 0000000042A8: D3D7008C 0E33CD16
	buffer_load_dword v32, s[20:23], 0 offen lds               // 0000000042B0: E0511000 80050020
	s_add_u32 m0, 0x700, s50                                   // 0000000042B8: 807C32FF 00000700
	v_mfma_i32_16x16x32_i8 v[140:143], a[24:25], v[232:233], v[140:143]// 0000000042C0: D3D7008C 0E33D118
	v_mfma_i32_16x16x32_i8 v[140:143], a[26:27], v[234:235], v[140:143]// 0000000042C8: D3D7008C 0E33D51A
	buffer_load_dwordx4 a[124:127], v35, s[92:95], 0 offen offset:3072// 0000000042D0: E05C1C00 80977C23
	v_mfma_i32_16x16x32_i8 v[140:143], a[28:29], v[236:237], v[140:143]// 0000000042D8: D3D7008C 0E33D91C
	v_mfma_i32_16x16x32_i8 v[140:143], a[30:31], v[238:239], v[140:143]// 0000000042E0: D3D7008C 0E33DD1E
	buffer_load_dword v33, s[20:23], 0 offen lds               // 0000000042E8: E0511000 80050021
	s_add_u32 m0, 0, s51                                       // 0000000042F0: 807C3380
	s_waitcnt vmcnt(28)                                        // 0000000042F4: BF8C4F7C
	v_mfma_i32_16x16x32_i8 v[144:147], a[32:33], v[208:209], v[144:147]// 0000000042F8: D3D70090 0E43A120
	v_mfma_i32_16x16x32_i8 v[144:147], a[34:35], v[210:211], v[144:147]// 000000004300: D3D70090 0E43A522
	buffer_load_dwordx4 a[128:131], v36, s[92:95], 0 offen     // 000000004308: E05C1000 80978024
	v_mfma_i32_16x16x32_i8 v[144:147], a[36:37], v[212:213], v[144:147]// 000000004310: D3D70090 0E43A924
	v_mfma_i32_16x16x32_i8 v[144:147], a[38:39], v[214:215], v[144:147]// 000000004318: D3D70090 0E43AD26
	v_mfma_i32_16x16x32_i8 v[144:147], a[40:41], v[216:217], v[144:147]// 000000004320: D3D70090 0E43B128
	v_mfma_i32_16x16x32_i8 v[144:147], a[42:43], v[218:219], v[144:147]// 000000004328: D3D70090 0E43B52A
	buffer_load_dwordx4 a[132:135], v36, s[92:95], 0 offen offset:1024// 000000004330: E05C1400 80978424
	v_mfma_i32_16x16x32_i8 v[144:147], a[44:45], v[220:221], v[144:147]// 000000004338: D3D70090 0E43B92C
	v_mfma_i32_16x16x32_i8 v[144:147], a[46:47], v[222:223], v[144:147]// 000000004340: D3D70090 0E43BD2E
	v_mfma_i32_16x16x32_i8 v[148:151], a[32:33], v[224:225], v[148:151]// 000000004348: D3D70094 0E53C120
	v_mfma_i32_16x16x32_i8 v[148:151], a[34:35], v[226:227], v[148:151]// 000000004350: D3D70094 0E53C522
	buffer_load_dwordx4 a[136:139], v36, s[92:95], 0 offen offset:2048// 000000004358: E05C1800 80978824
	v_mfma_i32_16x16x32_i8 v[148:151], a[36:37], v[228:229], v[148:151]// 000000004360: D3D70094 0E53C924
	v_mfma_i32_16x16x32_i8 v[148:151], a[38:39], v[230:231], v[148:151]// 000000004368: D3D70094 0E53CD26
	v_mfma_i32_16x16x32_i8 v[148:151], a[40:41], v[232:233], v[148:151]// 000000004370: D3D70094 0E53D128
	v_mfma_i32_16x16x32_i8 v[148:151], a[42:43], v[234:235], v[148:151]// 000000004378: D3D70094 0E53D52A
	buffer_load_dwordx4 a[140:143], v36, s[92:95], 0 offen offset:3072// 000000004380: E05C1C00 80978C24
	v_mfma_i32_16x16x32_i8 v[148:151], a[44:45], v[236:237], v[148:151]// 000000004388: D3D70094 0E53D92C
	v_mfma_i32_16x16x32_i8 v[148:151], a[46:47], v[238:239], v[148:151]// 000000004390: D3D70094 0E53DD2E
	s_waitcnt vmcnt(28)                                        // 000000004398: BF8C4F7C
	v_mfma_i32_16x16x32_i8 v[152:155], a[48:49], v[208:209], v[152:155]// 00000000439C: D3D70098 0E63A130
	v_mfma_i32_16x16x32_i8 v[152:155], a[50:51], v[210:211], v[152:155]// 0000000043A4: D3D70098 0E63A532
	buffer_load_dwordx4 a[144:147], v37, s[92:95], 0 offen     // 0000000043AC: E05C1000 80979025
	v_mfma_i32_16x16x32_i8 v[152:155], a[52:53], v[212:213], v[152:155]// 0000000043B4: D3D70098 0E63A934
	v_mfma_i32_16x16x32_i8 v[152:155], a[54:55], v[214:215], v[152:155]// 0000000043BC: D3D70098 0E63AD36
	v_mfma_i32_16x16x32_i8 v[152:155], a[56:57], v[216:217], v[152:155]// 0000000043C4: D3D70098 0E63B138
	v_mfma_i32_16x16x32_i8 v[152:155], a[58:59], v[218:219], v[152:155]// 0000000043CC: D3D70098 0E63B53A
	buffer_load_dwordx4 a[148:151], v37, s[92:95], 0 offen offset:1024// 0000000043D4: E05C1400 80979425
	v_mfma_i32_16x16x32_i8 v[152:155], a[60:61], v[220:221], v[152:155]// 0000000043DC: D3D70098 0E63B93C
	v_mfma_i32_16x16x32_i8 v[152:155], a[62:63], v[222:223], v[152:155]// 0000000043E4: D3D70098 0E63BD3E
	v_mfma_i32_16x16x32_i8 v[156:159], a[48:49], v[224:225], v[156:159]// 0000000043EC: D3D7009C 0E73C130
	v_mfma_i32_16x16x32_i8 v[156:159], a[50:51], v[226:227], v[156:159]// 0000000043F4: D3D7009C 0E73C532
	buffer_load_dwordx4 a[152:155], v37, s[92:95], 0 offen offset:2048// 0000000043FC: E05C1800 80979825
	v_mfma_i32_16x16x32_i8 v[156:159], a[52:53], v[228:229], v[156:159]// 000000004404: D3D7009C 0E73C934
	v_mfma_i32_16x16x32_i8 v[156:159], a[54:55], v[230:231], v[156:159]// 00000000440C: D3D7009C 0E73CD36
	v_mfma_i32_16x16x32_i8 v[156:159], a[56:57], v[232:233], v[156:159]// 000000004414: D3D7009C 0E73D138
	v_mfma_i32_16x16x32_i8 v[156:159], a[58:59], v[234:235], v[156:159]// 00000000441C: D3D7009C 0E73D53A
	buffer_load_dwordx4 a[156:159], v37, s[92:95], 0 offen offset:3072// 000000004424: E05C1C00 80979C25
	v_mfma_i32_16x16x32_i8 v[156:159], a[60:61], v[236:237], v[156:159]// 00000000442C: D3D7009C 0E73D93C
	v_mfma_i32_16x16x32_i8 v[156:159], a[62:63], v[238:239], v[156:159]// 000000004434: D3D7009C 0E73DD3E
	s_waitcnt vmcnt(28)                                        // 00000000443C: BF8C4F7C
	v_mfma_i32_16x16x32_i8 v[160:163], a[64:65], v[208:209], v[160:163]// 000000004440: D3D700A0 0E83A140
	v_mfma_i32_16x16x32_i8 v[160:163], a[66:67], v[210:211], v[160:163]// 000000004448: D3D700A0 0E83A542
	buffer_load_dwordx4 a[160:163], v38, s[92:95], 0 offen     // 000000004450: E05C1000 8097A026
	v_mfma_i32_16x16x32_i8 v[160:163], a[68:69], v[212:213], v[160:163]// 000000004458: D3D700A0 0E83A944
	v_mfma_i32_16x16x32_i8 v[160:163], a[70:71], v[214:215], v[160:163]// 000000004460: D3D700A0 0E83AD46
	v_mfma_i32_16x16x32_i8 v[160:163], a[72:73], v[216:217], v[160:163]// 000000004468: D3D700A0 0E83B148
	v_mfma_i32_16x16x32_i8 v[160:163], a[74:75], v[218:219], v[160:163]// 000000004470: D3D700A0 0E83B54A
	buffer_load_dwordx4 a[164:167], v38, s[92:95], 0 offen offset:1024// 000000004478: E05C1400 8097A426
	v_mfma_i32_16x16x32_i8 v[160:163], a[76:77], v[220:221], v[160:163]// 000000004480: D3D700A0 0E83B94C
	v_mfma_i32_16x16x32_i8 v[160:163], a[78:79], v[222:223], v[160:163]// 000000004488: D3D700A0 0E83BD4E
	v_mfma_i32_16x16x32_i8 v[164:167], a[64:65], v[224:225], v[164:167]// 000000004490: D3D700A4 0E93C140
	v_mfma_i32_16x16x32_i8 v[164:167], a[66:67], v[226:227], v[164:167]// 000000004498: D3D700A4 0E93C542
	buffer_load_dwordx4 a[168:171], v38, s[92:95], 0 offen offset:2048// 0000000044A0: E05C1800 8097A826
	v_mfma_i32_16x16x32_i8 v[164:167], a[68:69], v[228:229], v[164:167]// 0000000044A8: D3D700A4 0E93C944
	v_mfma_i32_16x16x32_i8 v[164:167], a[70:71], v[230:231], v[164:167]// 0000000044B0: D3D700A4 0E93CD46
	v_mfma_i32_16x16x32_i8 v[164:167], a[72:73], v[232:233], v[164:167]// 0000000044B8: D3D700A4 0E93D148
	v_mfma_i32_16x16x32_i8 v[164:167], a[74:75], v[234:235], v[164:167]// 0000000044C0: D3D700A4 0E93D54A
	buffer_load_dwordx4 a[172:175], v38, s[92:95], 0 offen offset:3072// 0000000044C8: E05C1C00 8097AC26
	v_mfma_i32_16x16x32_i8 v[164:167], a[76:77], v[236:237], v[164:167]// 0000000044D0: D3D700A4 0E93D94C
	v_mfma_i32_16x16x32_i8 v[164:167], a[78:79], v[238:239], v[164:167]// 0000000044D8: D3D700A4 0E93DD4E
	s_waitcnt vmcnt(28)                                        // 0000000044E0: BF8C4F7C
	v_mfma_i32_16x16x32_i8 v[168:171], a[80:81], v[208:209], v[168:171]// 0000000044E4: D3D700A8 0EA3A150
	v_mfma_i32_16x16x32_i8 v[168:171], a[82:83], v[210:211], v[168:171]// 0000000044EC: D3D700A8 0EA3A552
	buffer_load_dwordx4 a[176:179], v39, s[92:95], 0 offen     // 0000000044F4: E05C1000 8097B027
	v_mfma_i32_16x16x32_i8 v[168:171], a[84:85], v[212:213], v[168:171]// 0000000044FC: D3D700A8 0EA3A954
	v_mfma_i32_16x16x32_i8 v[168:171], a[86:87], v[214:215], v[168:171]// 000000004504: D3D700A8 0EA3AD56
	v_mfma_i32_16x16x32_i8 v[168:171], a[88:89], v[216:217], v[168:171]// 00000000450C: D3D700A8 0EA3B158
	v_mfma_i32_16x16x32_i8 v[168:171], a[90:91], v[218:219], v[168:171]// 000000004514: D3D700A8 0EA3B55A
	buffer_load_dwordx4 a[180:183], v39, s[92:95], 0 offen offset:1024// 00000000451C: E05C1400 8097B427
	v_mfma_i32_16x16x32_i8 v[168:171], a[92:93], v[220:221], v[168:171]// 000000004524: D3D700A8 0EA3B95C
	v_mfma_i32_16x16x32_i8 v[168:171], a[94:95], v[222:223], v[168:171]// 00000000452C: D3D700A8 0EA3BD5E
	v_mfma_i32_16x16x32_i8 v[172:175], a[80:81], v[224:225], v[172:175]// 000000004534: D3D700AC 0EB3C150
	v_mfma_i32_16x16x32_i8 v[172:175], a[82:83], v[226:227], v[172:175]// 00000000453C: D3D700AC 0EB3C552
	buffer_load_dwordx4 a[184:187], v39, s[92:95], 0 offen offset:2048// 000000004544: E05C1800 8097B827
	v_mfma_i32_16x16x32_i8 v[172:175], a[84:85], v[228:229], v[172:175]// 00000000454C: D3D700AC 0EB3C954
	v_mfma_i32_16x16x32_i8 v[172:175], a[86:87], v[230:231], v[172:175]// 000000004554: D3D700AC 0EB3CD56
	v_mfma_i32_16x16x32_i8 v[172:175], a[88:89], v[232:233], v[172:175]// 00000000455C: D3D700AC 0EB3D158
	v_mfma_i32_16x16x32_i8 v[172:175], a[90:91], v[234:235], v[172:175]// 000000004564: D3D700AC 0EB3D55A
	buffer_load_dwordx4 a[188:191], v39, s[92:95], 0 offen offset:3072// 00000000456C: E05C1C00 8097BC27
	v_mfma_i32_16x16x32_i8 v[172:175], a[92:93], v[236:237], v[172:175]// 000000004574: D3D700AC 0EB3D95C
	v_mfma_i32_16x16x32_i8 v[172:175], a[94:95], v[238:239], v[172:175]// 00000000457C: D3D700AC 0EB3DD5E
	s_waitcnt vmcnt(16)                                        // 000000004584: BF8C4F70
	s_barrier                                                  // 000000004588: BF8A0000
	v_mfma_i32_16x16x32_i8 v[64:67], a[96:97], v[208:209], v[64:67]// 00000000458C: D3D70040 0D03A160
	v_mfma_i32_16x16x32_i8 v[64:67], a[98:99], v[210:211], v[64:67]// 000000004594: D3D70040 0D03A562
	buffer_load_dwordx4 a[0:3], v34, s[24:27], 0 offen         // 00000000459C: E05C1000 80860022
	v_mfma_i32_16x16x32_i8 v[64:67], a[100:101], v[212:213], v[64:67]// 0000000045A4: D3D70040 0D03A964
	v_mfma_i32_16x16x32_i8 v[64:67], a[102:103], v[214:215], v[64:67]// 0000000045AC: D3D70040 0D03AD66
	v_mfma_i32_16x16x32_i8 v[64:67], a[104:105], v[216:217], v[64:67]// 0000000045B4: D3D70040 0D03B168
	v_mfma_i32_16x16x32_i8 v[64:67], a[106:107], v[218:219], v[64:67]// 0000000045BC: D3D70040 0D03B56A
	buffer_load_dwordx4 a[4:7], v34, s[24:27], 0 offen offset:1024// 0000000045C4: E05C1400 80860422
	v_mfma_i32_16x16x32_i8 v[64:67], a[108:109], v[220:221], v[64:67]// 0000000045CC: D3D70040 0D03B96C
	v_mfma_i32_16x16x32_i8 v[64:67], a[110:111], v[222:223], v[64:67]// 0000000045D4: D3D70040 0D03BD6E
	v_mfma_i32_16x16x32_i8 v[68:71], a[96:97], v[224:225], v[68:71]// 0000000045DC: D3D70044 0D13C160
	v_mfma_i32_16x16x32_i8 v[68:71], a[98:99], v[226:227], v[68:71]// 0000000045E4: D3D70044 0D13C562
	buffer_load_dwordx4 a[8:11], v34, s[24:27], 0 offen offset:2048// 0000000045EC: E05C1800 80860822
	v_mfma_i32_16x16x32_i8 v[68:71], a[100:101], v[228:229], v[68:71]// 0000000045F4: D3D70044 0D13C964
	v_mfma_i32_16x16x32_i8 v[68:71], a[102:103], v[230:231], v[68:71]// 0000000045FC: D3D70044 0D13CD66
	v_mfma_i32_16x16x32_i8 v[68:71], a[104:105], v[232:233], v[68:71]// 000000004604: D3D70044 0D13D168
	v_mfma_i32_16x16x32_i8 v[68:71], a[106:107], v[234:235], v[68:71]// 00000000460C: D3D70044 0D13D56A
	buffer_load_dwordx4 a[12:15], v34, s[24:27], 0 offen offset:3072// 000000004614: E05C1C00 80860C22
	v_mfma_i32_16x16x32_i8 v[68:71], a[108:109], v[236:237], v[68:71]// 00000000461C: D3D70044 0D13D96C
	v_mfma_i32_16x16x32_i8 v[68:71], a[110:111], v[238:239], v[68:71]// 000000004624: D3D70044 0D13DD6E
	v_mfma_i32_16x16x32_i8 v[72:75], a[112:113], v[208:209], v[72:75]// 00000000462C: D3D70048 0D23A170
	v_mfma_i32_16x16x32_i8 v[72:75], a[114:115], v[210:211], v[72:75]// 000000004634: D3D70048 0D23A572
	buffer_load_dwordx4 a[16:19], v35, s[24:27], 0 offen       // 00000000463C: E05C1000 80861023
	v_mfma_i32_16x16x32_i8 v[72:75], a[116:117], v[212:213], v[72:75]// 000000004644: D3D70048 0D23A974
	v_mfma_i32_16x16x32_i8 v[72:75], a[118:119], v[214:215], v[72:75]// 00000000464C: D3D70048 0D23AD76
	v_mfma_i32_16x16x32_i8 v[72:75], a[120:121], v[216:217], v[72:75]// 000000004654: D3D70048 0D23B178
	v_mfma_i32_16x16x32_i8 v[72:75], a[122:123], v[218:219], v[72:75]// 00000000465C: D3D70048 0D23B57A
	buffer_load_dwordx4 a[20:23], v35, s[24:27], 0 offen offset:1024// 000000004664: E05C1400 80861423
	v_mfma_i32_16x16x32_i8 v[72:75], a[124:125], v[220:221], v[72:75]// 00000000466C: D3D70048 0D23B97C
	v_mfma_i32_16x16x32_i8 v[72:75], a[126:127], v[222:223], v[72:75]// 000000004674: D3D70048 0D23BD7E
	v_mfma_i32_16x16x32_i8 v[76:79], a[112:113], v[224:225], v[76:79]// 00000000467C: D3D7004C 0D33C170
	v_mfma_i32_16x16x32_i8 v[76:79], a[114:115], v[226:227], v[76:79]// 000000004684: D3D7004C 0D33C572
	buffer_load_dwordx4 a[24:27], v35, s[24:27], 0 offen offset:2048// 00000000468C: E05C1800 80861823
	v_mfma_i32_16x16x32_i8 v[76:79], a[116:117], v[228:229], v[76:79]// 000000004694: D3D7004C 0D33C974
	v_mfma_i32_16x16x32_i8 v[76:79], a[118:119], v[230:231], v[76:79]// 00000000469C: D3D7004C 0D33CD76
	v_mfma_i32_16x16x32_i8 v[76:79], a[120:121], v[232:233], v[76:79]// 0000000046A4: D3D7004C 0D33D178
	v_mfma_i32_16x16x32_i8 v[76:79], a[122:123], v[234:235], v[76:79]// 0000000046AC: D3D7004C 0D33D57A
	buffer_load_dwordx4 a[28:31], v35, s[24:27], 0 offen offset:3072// 0000000046B4: E05C1C00 80861C23
	v_mfma_i32_16x16x32_i8 v[76:79], a[124:125], v[236:237], v[76:79]// 0000000046BC: D3D7004C 0D33D97C
	v_mfma_i32_16x16x32_i8 v[76:79], a[126:127], v[238:239], v[76:79]// 0000000046C4: D3D7004C 0D33DD7E
	s_waitcnt vmcnt(20)                                        // 0000000046CC: BF8C4F74
	v_mfma_i32_16x16x32_i8 v[80:83], a[128:129], v[208:209], v[80:83]// 0000000046D0: D3D70050 0D43A180
	v_mfma_i32_16x16x32_i8 v[80:83], a[130:131], v[210:211], v[80:83]// 0000000046D8: D3D70050 0D43A582
	buffer_load_dwordx4 a[32:35], v36, s[24:27], 0 offen       // 0000000046E0: E05C1000 80862024
	v_mfma_i32_16x16x32_i8 v[80:83], a[132:133], v[212:213], v[80:83]// 0000000046E8: D3D70050 0D43A984
	v_mfma_i32_16x16x32_i8 v[80:83], a[134:135], v[214:215], v[80:83]// 0000000046F0: D3D70050 0D43AD86
	ds_read_b128 v[176:179], v2                                // 0000000046F8: D9FE0000 B0000002
	v_mfma_i32_16x16x32_i8 v[80:83], a[136:137], v[216:217], v[80:83]// 000000004700: D3D70050 0D43B188
	v_mfma_i32_16x16x32_i8 v[80:83], a[138:139], v[218:219], v[80:83]// 000000004708: D3D70050 0D43B58A
	buffer_load_dwordx4 a[36:39], v36, s[24:27], 0 offen offset:1024// 000000004710: E05C1400 80862424
	v_mfma_i32_16x16x32_i8 v[80:83], a[140:141], v[220:221], v[80:83]// 000000004718: D3D70050 0D43B98C
	v_mfma_i32_16x16x32_i8 v[80:83], a[142:143], v[222:223], v[80:83]// 000000004720: D3D70050 0D43BD8E
	ds_read_b128 v[180:183], v2 offset:64                      // 000000004728: D9FE0040 B4000002
	v_mfma_i32_16x16x32_i8 v[84:87], a[128:129], v[224:225], v[84:87]// 000000004730: D3D70054 0D53C180
	v_mfma_i32_16x16x32_i8 v[84:87], a[130:131], v[226:227], v[84:87]// 000000004738: D3D70054 0D53C582
	buffer_load_dwordx4 a[40:43], v36, s[24:27], 0 offen offset:2048// 000000004740: E05C1800 80862824
	v_mfma_i32_16x16x32_i8 v[84:87], a[132:133], v[228:229], v[84:87]// 000000004748: D3D70054 0D53C984
	v_mfma_i32_16x16x32_i8 v[84:87], a[134:135], v[230:231], v[84:87]// 000000004750: D3D70054 0D53CD86
	ds_read_b128 v[184:187], v2 offset:128                     // 000000004758: D9FE0080 B8000002
	v_mfma_i32_16x16x32_i8 v[84:87], a[136:137], v[232:233], v[84:87]// 000000004760: D3D70054 0D53D188
	v_mfma_i32_16x16x32_i8 v[84:87], a[138:139], v[234:235], v[84:87]// 000000004768: D3D70054 0D53D58A
	buffer_load_dwordx4 a[44:47], v36, s[24:27], 0 offen offset:3072// 000000004770: E05C1C00 80862C24
	v_mfma_i32_16x16x32_i8 v[84:87], a[140:141], v[236:237], v[84:87]// 000000004778: D3D70054 0D53D98C
	v_mfma_i32_16x16x32_i8 v[84:87], a[142:143], v[238:239], v[84:87]// 000000004780: D3D70054 0D53DD8E
	ds_read_b128 v[188:191], v2 offset:192                     // 000000004788: D9FE00C0 BC000002
	s_waitcnt vmcnt(20)                                        // 000000004790: BF8C4F74
	v_mfma_i32_16x16x32_i8 v[88:91], a[144:145], v[208:209], v[88:91]// 000000004794: D3D70058 0D63A190
	v_mfma_i32_16x16x32_i8 v[88:91], a[146:147], v[210:211], v[88:91]// 00000000479C: D3D70058 0D63A592
	buffer_load_dwordx4 a[48:51], v37, s[24:27], 0 offen       // 0000000047A4: E05C1000 80863025
	v_mfma_i32_16x16x32_i8 v[88:91], a[148:149], v[212:213], v[88:91]// 0000000047AC: D3D70058 0D63A994
	v_mfma_i32_16x16x32_i8 v[88:91], a[150:151], v[214:215], v[88:91]// 0000000047B4: D3D70058 0D63AD96
	ds_read_b128 v[192:195], v2 offset:1024                    // 0000000047BC: D9FE0400 C0000002
	v_mfma_i32_16x16x32_i8 v[88:91], a[152:153], v[216:217], v[88:91]// 0000000047C4: D3D70058 0D63B198
	v_mfma_i32_16x16x32_i8 v[88:91], a[154:155], v[218:219], v[88:91]// 0000000047CC: D3D70058 0D63B59A
	buffer_load_dwordx4 a[52:55], v37, s[24:27], 0 offen offset:1024// 0000000047D4: E05C1400 80863425
	v_mfma_i32_16x16x32_i8 v[88:91], a[156:157], v[220:221], v[88:91]// 0000000047DC: D3D70058 0D63B99C
	v_mfma_i32_16x16x32_i8 v[88:91], a[158:159], v[222:223], v[88:91]// 0000000047E4: D3D70058 0D63BD9E
	ds_read_b128 v[196:199], v2 offset:1088                    // 0000000047EC: D9FE0440 C4000002
	v_mfma_i32_16x16x32_i8 v[92:95], a[144:145], v[224:225], v[92:95]// 0000000047F4: D3D7005C 0D73C190
	v_mfma_i32_16x16x32_i8 v[92:95], a[146:147], v[226:227], v[92:95]// 0000000047FC: D3D7005C 0D73C592
	buffer_load_dwordx4 a[56:59], v37, s[24:27], 0 offen offset:2048// 000000004804: E05C1800 80863825
	v_mfma_i32_16x16x32_i8 v[92:95], a[148:149], v[228:229], v[92:95]// 00000000480C: D3D7005C 0D73C994
	v_mfma_i32_16x16x32_i8 v[92:95], a[150:151], v[230:231], v[92:95]// 000000004814: D3D7005C 0D73CD96
	ds_read_b128 v[200:203], v2 offset:1152                    // 00000000481C: D9FE0480 C8000002
	v_mfma_i32_16x16x32_i8 v[92:95], a[152:153], v[232:233], v[92:95]// 000000004824: D3D7005C 0D73D198
	v_mfma_i32_16x16x32_i8 v[92:95], a[154:155], v[234:235], v[92:95]// 00000000482C: D3D7005C 0D73D59A
	buffer_load_dwordx4 a[60:63], v37, s[24:27], 0 offen offset:3072// 000000004834: E05C1C00 80863C25
	v_mfma_i32_16x16x32_i8 v[92:95], a[156:157], v[236:237], v[92:95]// 00000000483C: D3D7005C 0D73D99C
	v_mfma_i32_16x16x32_i8 v[92:95], a[158:159], v[238:239], v[92:95]// 000000004844: D3D7005C 0D73DD9E
	ds_read_b128 v[204:207], v2 offset:1216                    // 00000000484C: D9FE04C0 CC000002
	s_waitcnt vmcnt(20)                                        // 000000004854: BF8C4F74
	v_mfma_i32_16x16x32_i8 v[96:99], a[160:161], v[208:209], v[96:99]// 000000004858: D3D70060 0D83A1A0
	v_mfma_i32_16x16x32_i8 v[96:99], a[162:163], v[210:211], v[96:99]// 000000004860: D3D70060 0D83A5A2
	buffer_load_dwordx4 a[64:67], v38, s[24:27], 0 offen       // 000000004868: E05C1000 80864026
	v_mfma_i32_16x16x32_i8 v[96:99], a[164:165], v[212:213], v[96:99]// 000000004870: D3D70060 0D83A9A4
	v_mfma_i32_16x16x32_i8 v[96:99], a[166:167], v[214:215], v[96:99]// 000000004878: D3D70060 0D83ADA6
	v_mfma_i32_16x16x32_i8 v[96:99], a[168:169], v[216:217], v[96:99]// 000000004880: D3D70060 0D83B1A8
	v_mfma_i32_16x16x32_i8 v[96:99], a[170:171], v[218:219], v[96:99]// 000000004888: D3D70060 0D83B5AA
	buffer_load_dwordx4 a[68:71], v38, s[24:27], 0 offen offset:1024// 000000004890: E05C1400 80864426
	v_mfma_i32_16x16x32_i8 v[96:99], a[172:173], v[220:221], v[96:99]// 000000004898: D3D70060 0D83B9AC
	v_mfma_i32_16x16x32_i8 v[96:99], a[174:175], v[222:223], v[96:99]// 0000000048A0: D3D70060 0D83BDAE
	v_mfma_i32_16x16x32_i8 v[100:103], a[160:161], v[224:225], v[100:103]// 0000000048A8: D3D70064 0D93C1A0
	v_mfma_i32_16x16x32_i8 v[100:103], a[162:163], v[226:227], v[100:103]// 0000000048B0: D3D70064 0D93C5A2
	buffer_load_dwordx4 a[72:75], v38, s[24:27], 0 offen offset:2048// 0000000048B8: E05C1800 80864826
	v_mfma_i32_16x16x32_i8 v[100:103], a[164:165], v[228:229], v[100:103]// 0000000048C0: D3D70064 0D93C9A4
	v_mfma_i32_16x16x32_i8 v[100:103], a[166:167], v[230:231], v[100:103]// 0000000048C8: D3D70064 0D93CDA6
	v_mfma_i32_16x16x32_i8 v[100:103], a[168:169], v[232:233], v[100:103]// 0000000048D0: D3D70064 0D93D1A8
	v_mfma_i32_16x16x32_i8 v[100:103], a[170:171], v[234:235], v[100:103]// 0000000048D8: D3D70064 0D93D5AA
	buffer_load_dwordx4 a[76:79], v38, s[24:27], 0 offen offset:3072// 0000000048E0: E05C1C00 80864C26
	v_mfma_i32_16x16x32_i8 v[100:103], a[172:173], v[236:237], v[100:103]// 0000000048E8: D3D70064 0D93D9AC
	v_mfma_i32_16x16x32_i8 v[100:103], a[174:175], v[238:239], v[100:103]// 0000000048F0: D3D70064 0D93DDAE
	s_waitcnt vmcnt(20)                                        // 0000000048F8: BF8C4F74
	v_mfma_i32_16x16x32_i8 v[104:107], a[176:177], v[208:209], v[104:107]// 0000000048FC: D3D70068 0DA3A1B0
	v_mfma_i32_16x16x32_i8 v[104:107], a[178:179], v[210:211], v[104:107]// 000000004904: D3D70068 0DA3A5B2
	buffer_load_dwordx4 a[80:83], v39, s[24:27], 0 offen       // 00000000490C: E05C1000 80865027
	v_mfma_i32_16x16x32_i8 v[104:107], a[180:181], v[212:213], v[104:107]// 000000004914: D3D70068 0DA3A9B4
	v_mfma_i32_16x16x32_i8 v[104:107], a[182:183], v[214:215], v[104:107]// 00000000491C: D3D70068 0DA3ADB6
	v_mfma_i32_16x16x32_i8 v[104:107], a[184:185], v[216:217], v[104:107]// 000000004924: D3D70068 0DA3B1B8
	v_mfma_i32_16x16x32_i8 v[104:107], a[186:187], v[218:219], v[104:107]// 00000000492C: D3D70068 0DA3B5BA
	buffer_load_dwordx4 a[84:87], v39, s[24:27], 0 offen offset:1024// 000000004934: E05C1400 80865427
	v_mfma_i32_16x16x32_i8 v[104:107], a[188:189], v[220:221], v[104:107]// 00000000493C: D3D70068 0DA3B9BC
	v_mfma_i32_16x16x32_i8 v[104:107], a[190:191], v[222:223], v[104:107]// 000000004944: D3D70068 0DA3BDBE
	v_mfma_i32_16x16x32_i8 v[108:111], a[176:177], v[224:225], v[108:111]// 00000000494C: D3D7006C 0DB3C1B0
	v_mfma_i32_16x16x32_i8 v[108:111], a[178:179], v[226:227], v[108:111]// 000000004954: D3D7006C 0DB3C5B2
	buffer_load_dwordx4 a[88:91], v39, s[24:27], 0 offen offset:2048// 00000000495C: E05C1800 80865827
	v_mfma_i32_16x16x32_i8 v[108:111], a[180:181], v[228:229], v[108:111]// 000000004964: D3D7006C 0DB3C9B4
	v_mfma_i32_16x16x32_i8 v[108:111], a[182:183], v[230:231], v[108:111]// 00000000496C: D3D7006C 0DB3CDB6
	v_mfma_i32_16x16x32_i8 v[108:111], a[184:185], v[232:233], v[108:111]// 000000004974: D3D7006C 0DB3D1B8
	v_mfma_i32_16x16x32_i8 v[108:111], a[186:187], v[234:235], v[108:111]// 00000000497C: D3D7006C 0DB3D5BA
	buffer_load_dwordx4 a[92:95], v39, s[24:27], 0 offen offset:3072// 000000004984: E05C1C00 80865C27
	v_mfma_i32_16x16x32_i8 v[108:111], a[188:189], v[236:237], v[108:111]// 00000000498C: D3D7006C 0DB3D9BC
	v_mfma_i32_16x16x32_i8 v[108:111], a[190:191], v[238:239], v[108:111]// 000000004994: D3D7006C 0DB3DDBE
	s_add_u32 s60, 0x200, s80                                  // 00000000499C: 803C50FF 00000200
	s_cmp_lt_u32 s60, s81                                      // 0000000049A4: BF0A513C
	s_cselect_b32 s57, s57, 0                                  // 0000000049A8: 85398039
	s_add_u32 s60, 0x200, s80                                  // 0000000049AC: 803C50FF 00000200
	s_cmp_lt_u32 s60, s81                                      // 0000000049B4: BF0A513C
	s_cselect_b32 s58, s58, 0                                  // 0000000049B8: 853A803A
	s_add_u32 s20, s57, s20                                    // 0000000049BC: 80141439
	s_addc_u32 s21, 0, s21                                     // 0000000049C0: 82151580
	s_add_u32 s24, s58, s24                                    // 0000000049C4: 8018183A
	s_addc_u32 s25, 0, s25                                     // 0000000049C8: 82191980
	s_add_u32 s92, s90, s92                                    // 0000000049CC: 805C5C5A
	s_addc_u32 s93, 0, s93                                     // 0000000049D0: 825D5D80
	s_addk_i32 s80, 0x100                                      // 0000000049D4: B7500100
	s_cmp_lt_i32 s80, s81                                      // 0000000049D8: BF045150
	s_cbranch_scc0 label_06F9                                  // 0000000049DC: BF840001
	s_branch label_02A0                                        // 0000000049E0: BF82FBA7

00000000000049e4 <label_06F9>:
	s_mov_b32 s36, -1                                          // 0000000049E4: BEA400C1
	s_mov_b32 s37, -1                                          // 0000000049E8: BEA500C1
	s_mov_b64 s[60:61], 0                                      // 0000000049EC: BEBC0180
	s_cmp_lt_u32 s82, s66                                      // 0000000049F0: BF0A4252
	s_cselect_b64 s[20:21], s[36:37], s[60:61]                 // 0000000049F4: 85943C24
	s_cmp_lt_u32 s83, s66                                      // 0000000049F8: BF0A4253
	s_cselect_b64 s[22:23], s[36:37], s[60:61]                 // 0000000049FC: 85963C24
	s_cmp_lt_u32 s84, s66                                      // 000000004A00: BF0A4254
	s_cselect_b64 s[24:25], s[36:37], s[60:61]                 // 000000004A04: 85983C24
	s_cmp_lt_u32 s85, s66                                      // 000000004A08: BF0A4255
	s_cselect_b64 s[26:27], s[36:37], s[60:61]                 // 000000004A0C: 859A3C24
	s_cmp_lt_u32 s86, s66                                      // 000000004A10: BF0A4256
	s_cselect_b64 s[28:29], s[36:37], s[60:61]                 // 000000004A14: 859C3C24
	s_cmp_lt_u32 s87, s66                                      // 000000004A18: BF0A4257
	s_cselect_b64 s[30:31], s[36:37], s[60:61]                 // 000000004A1C: 859E3C24
	s_cmp_lt_u32 s88, s66                                      // 000000004A20: BF0A4258
	s_cselect_b64 s[32:33], s[36:37], s[60:61]                 // 000000004A24: 85A03C24
	s_cmp_lt_u32 s89, s66                                      // 000000004A28: BF0A4259
	s_cselect_b64 s[34:35], s[36:37], s[60:61]                 // 000000004A2C: 85A23C24
	v_cvt_f32_i32_e32 v128, v128                               // 000000004A30: 7F000B80
	v_cvt_f32_i32_e32 v129, v129                               // 000000004A34: 7F020B81
	v_cvt_f32_i32_e32 v130, v130                               // 000000004A38: 7F040B82
	v_cvt_f32_i32_e32 v131, v131                               // 000000004A3C: 7F060B83
	v_mul_f32_e32 v128, v14, v128                              // 000000004A40: 0B01010E
	v_mul_f32_e32 v129, v14, v129                              // 000000004A44: 0B03030E
	v_mul_f32_e32 v130, v14, v130                              // 000000004A48: 0B05050E
	v_mul_f32_e32 v131, v14, v131                              // 000000004A4C: 0B07070E
	v_mul_f32_dpp v128, v16, v128 row_newbcast:0 row_mask:0xf bank_mask:0xf// 000000004A50: 0B0100FA FF015010
	v_mul_f32_dpp v129, v16, v129 row_newbcast:1 row_mask:0xf bank_mask:0xf// 000000004A58: 0B0302FA FF015110
	v_mul_f32_dpp v130, v16, v130 row_newbcast:2 row_mask:0xf bank_mask:0xf// 000000004A60: 0B0504FA FF015210
	v_mul_f32_dpp v131, v16, v131 row_newbcast:3 row_mask:0xf bank_mask:0xf// 000000004A68: 0B0706FA FF015310
	v_cvt_f32_i32_e32 v132, v132                               // 000000004A70: 7F080B84
	v_cvt_f32_i32_e32 v133, v133                               // 000000004A74: 7F0A0B85
	v_cvt_f32_i32_e32 v134, v134                               // 000000004A78: 7F0C0B86
	v_cvt_f32_i32_e32 v135, v135                               // 000000004A7C: 7F0E0B87
	v_mul_f32_e32 v132, v15, v132                              // 000000004A80: 0B09090F
	v_mul_f32_e32 v133, v15, v133                              // 000000004A84: 0B0B0B0F
	v_mul_f32_e32 v134, v15, v134                              // 000000004A88: 0B0D0D0F
	v_mul_f32_e32 v135, v15, v135                              // 000000004A8C: 0B0F0F0F
	v_mul_f32_dpp v132, v16, v132 row_newbcast:0 row_mask:0xf bank_mask:0xf// 000000004A90: 0B0908FA FF015010
	v_mul_f32_dpp v133, v16, v133 row_newbcast:1 row_mask:0xf bank_mask:0xf// 000000004A98: 0B0B0AFA FF015110
	v_mul_f32_dpp v134, v16, v134 row_newbcast:2 row_mask:0xf bank_mask:0xf// 000000004AA0: 0B0D0CFA FF015210
	v_mul_f32_dpp v135, v16, v135 row_newbcast:3 row_mask:0xf bank_mask:0xf// 000000004AA8: 0B0F0EFA FF015310
	v_cvt_f32_i32_e32 v136, v136                               // 000000004AB0: 7F100B88
	v_cvt_f32_i32_e32 v137, v137                               // 000000004AB4: 7F120B89
	v_cvt_f32_i32_e32 v138, v138                               // 000000004AB8: 7F140B8A
	v_cvt_f32_i32_e32 v139, v139                               // 000000004ABC: 7F160B8B
	v_mul_f32_e32 v136, v14, v136                              // 000000004AC0: 0B11110E
	v_mul_f32_e32 v137, v14, v137                              // 000000004AC4: 0B13130E
	v_mul_f32_e32 v138, v14, v138                              // 000000004AC8: 0B15150E
	v_mul_f32_e32 v139, v14, v139                              // 000000004ACC: 0B17170E
	v_mul_f32_dpp v136, v16, v136 row_newbcast:4 row_mask:0xf bank_mask:0xf// 000000004AD0: 0B1110FA FF015410
	v_mul_f32_dpp v137, v16, v137 row_newbcast:5 row_mask:0xf bank_mask:0xf// 000000004AD8: 0B1312FA FF015510
	v_mul_f32_dpp v138, v16, v138 row_newbcast:6 row_mask:0xf bank_mask:0xf// 000000004AE0: 0B1514FA FF015610
	v_mul_f32_dpp v139, v16, v139 row_newbcast:7 row_mask:0xf bank_mask:0xf// 000000004AE8: 0B1716FA FF015710
	v_cvt_f32_i32_e32 v140, v140                               // 000000004AF0: 7F180B8C
	v_cvt_f32_i32_e32 v141, v141                               // 000000004AF4: 7F1A0B8D
	v_cvt_f32_i32_e32 v142, v142                               // 000000004AF8: 7F1C0B8E
	v_cvt_f32_i32_e32 v143, v143                               // 000000004AFC: 7F1E0B8F
	v_mul_f32_e32 v140, v15, v140                              // 000000004B00: 0B19190F
	v_mul_f32_e32 v141, v15, v141                              // 000000004B04: 0B1B1B0F
	v_mul_f32_e32 v142, v15, v142                              // 000000004B08: 0B1D1D0F
	v_mul_f32_e32 v143, v15, v143                              // 000000004B0C: 0B1F1F0F
	v_mul_f32_dpp v140, v16, v140 row_newbcast:4 row_mask:0xf bank_mask:0xf// 000000004B10: 0B1918FA FF015410
	v_mul_f32_dpp v141, v16, v141 row_newbcast:5 row_mask:0xf bank_mask:0xf// 000000004B18: 0B1B1AFA FF015510
	v_mul_f32_dpp v142, v16, v142 row_newbcast:6 row_mask:0xf bank_mask:0xf// 000000004B20: 0B1D1CFA FF015610
	v_mul_f32_dpp v143, v16, v143 row_newbcast:7 row_mask:0xf bank_mask:0xf// 000000004B28: 0B1F1EFA FF015710
	v_cvt_f32_i32_e32 v144, v144                               // 000000004B30: 7F200B90
	v_cvt_f32_i32_e32 v145, v145                               // 000000004B34: 7F220B91
	v_cvt_f32_i32_e32 v146, v146                               // 000000004B38: 7F240B92
	v_cvt_f32_i32_e32 v147, v147                               // 000000004B3C: 7F260B93
	v_mul_f32_e32 v144, v14, v144                              // 000000004B40: 0B21210E
	v_mul_f32_e32 v145, v14, v145                              // 000000004B44: 0B23230E
	v_mul_f32_e32 v146, v14, v146                              // 000000004B48: 0B25250E
	v_mul_f32_e32 v147, v14, v147                              // 000000004B4C: 0B27270E
	v_mul_f32_dpp v144, v16, v144 row_newbcast:8 row_mask:0xf bank_mask:0xf// 000000004B50: 0B2120FA FF015810
	v_mul_f32_dpp v145, v16, v145 row_newbcast:9 row_mask:0xf bank_mask:0xf// 000000004B58: 0B2322FA FF015910
	v_mul_f32_dpp v146, v16, v146 row_newbcast:10 row_mask:0xf bank_mask:0xf// 000000004B60: 0B2524FA FF015A10
	v_mul_f32_dpp v147, v16, v147 row_newbcast:11 row_mask:0xf bank_mask:0xf// 000000004B68: 0B2726FA FF015B10
	v_cvt_f32_i32_e32 v148, v148                               // 000000004B70: 7F280B94
	v_cvt_f32_i32_e32 v149, v149                               // 000000004B74: 7F2A0B95
	v_cvt_f32_i32_e32 v150, v150                               // 000000004B78: 7F2C0B96
	v_cvt_f32_i32_e32 v151, v151                               // 000000004B7C: 7F2E0B97
	v_mul_f32_e32 v148, v15, v148                              // 000000004B80: 0B29290F
	v_mul_f32_e32 v149, v15, v149                              // 000000004B84: 0B2B2B0F
	v_mul_f32_e32 v150, v15, v150                              // 000000004B88: 0B2D2D0F
	v_mul_f32_e32 v151, v15, v151                              // 000000004B8C: 0B2F2F0F
	v_mul_f32_dpp v148, v16, v148 row_newbcast:8 row_mask:0xf bank_mask:0xf// 000000004B90: 0B2928FA FF015810
	v_mul_f32_dpp v149, v16, v149 row_newbcast:9 row_mask:0xf bank_mask:0xf// 000000004B98: 0B2B2AFA FF015910
	v_mul_f32_dpp v150, v16, v150 row_newbcast:10 row_mask:0xf bank_mask:0xf// 000000004BA0: 0B2D2CFA FF015A10
	v_mul_f32_dpp v151, v16, v151 row_newbcast:11 row_mask:0xf bank_mask:0xf// 000000004BA8: 0B2F2EFA FF015B10
	v_cvt_f32_i32_e32 v152, v152                               // 000000004BB0: 7F300B98
	v_cvt_f32_i32_e32 v153, v153                               // 000000004BB4: 7F320B99
	v_cvt_f32_i32_e32 v154, v154                               // 000000004BB8: 7F340B9A
	v_cvt_f32_i32_e32 v155, v155                               // 000000004BBC: 7F360B9B
	v_mul_f32_e32 v152, v14, v152                              // 000000004BC0: 0B31310E
	v_mul_f32_e32 v153, v14, v153                              // 000000004BC4: 0B33330E
	v_mul_f32_e32 v154, v14, v154                              // 000000004BC8: 0B35350E
	v_mul_f32_e32 v155, v14, v155                              // 000000004BCC: 0B37370E
	v_mul_f32_dpp v152, v16, v152 row_newbcast:12 row_mask:0xf bank_mask:0xf// 000000004BD0: 0B3130FA FF015C10
	v_mul_f32_dpp v153, v16, v153 row_newbcast:13 row_mask:0xf bank_mask:0xf// 000000004BD8: 0B3332FA FF015D10
	v_mul_f32_dpp v154, v16, v154 row_newbcast:14 row_mask:0xf bank_mask:0xf// 000000004BE0: 0B3534FA FF015E10
	v_mul_f32_dpp v155, v16, v155 row_newbcast:15 row_mask:0xf bank_mask:0xf// 000000004BE8: 0B3736FA FF015F10
	v_cvt_f32_i32_e32 v156, v156                               // 000000004BF0: 7F380B9C
	v_cvt_f32_i32_e32 v157, v157                               // 000000004BF4: 7F3A0B9D
	v_cvt_f32_i32_e32 v158, v158                               // 000000004BF8: 7F3C0B9E
	v_cvt_f32_i32_e32 v159, v159                               // 000000004BFC: 7F3E0B9F
	v_mul_f32_e32 v156, v15, v156                              // 000000004C00: 0B39390F
	v_mul_f32_e32 v157, v15, v157                              // 000000004C04: 0B3B3B0F
	v_mul_f32_e32 v158, v15, v158                              // 000000004C08: 0B3D3D0F
	v_mul_f32_e32 v159, v15, v159                              // 000000004C0C: 0B3F3F0F
	v_mul_f32_dpp v156, v16, v156 row_newbcast:12 row_mask:0xf bank_mask:0xf// 000000004C10: 0B3938FA FF015C10
	v_mul_f32_dpp v157, v16, v157 row_newbcast:13 row_mask:0xf bank_mask:0xf// 000000004C18: 0B3B3AFA FF015D10
	v_mul_f32_dpp v158, v16, v158 row_newbcast:14 row_mask:0xf bank_mask:0xf// 000000004C20: 0B3D3CFA FF015E10
	v_mul_f32_dpp v159, v16, v159 row_newbcast:15 row_mask:0xf bank_mask:0xf// 000000004C28: 0B3F3EFA FF015F10
	v_cvt_f32_i32_e32 v160, v160                               // 000000004C30: 7F400BA0
	v_cvt_f32_i32_e32 v161, v161                               // 000000004C34: 7F420BA1
	v_cvt_f32_i32_e32 v162, v162                               // 000000004C38: 7F440BA2
	v_cvt_f32_i32_e32 v163, v163                               // 000000004C3C: 7F460BA3
	v_mul_f32_e32 v160, v14, v160                              // 000000004C40: 0B41410E
	v_mul_f32_e32 v161, v14, v161                              // 000000004C44: 0B43430E
	v_mul_f32_e32 v162, v14, v162                              // 000000004C48: 0B45450E
	v_mul_f32_e32 v163, v14, v163                              // 000000004C4C: 0B47470E
	v_mul_f32_dpp v160, v17, v160 row_newbcast:0 row_mask:0xf bank_mask:0xf// 000000004C50: 0B4140FA FF015011
	v_mul_f32_dpp v161, v17, v161 row_newbcast:1 row_mask:0xf bank_mask:0xf// 000000004C58: 0B4342FA FF015111
	v_mul_f32_dpp v162, v17, v162 row_newbcast:2 row_mask:0xf bank_mask:0xf// 000000004C60: 0B4544FA FF015211
	v_mul_f32_dpp v163, v17, v163 row_newbcast:3 row_mask:0xf bank_mask:0xf// 000000004C68: 0B4746FA FF015311
	v_cvt_f32_i32_e32 v164, v164                               // 000000004C70: 7F480BA4
	v_cvt_f32_i32_e32 v165, v165                               // 000000004C74: 7F4A0BA5
	v_cvt_f32_i32_e32 v166, v166                               // 000000004C78: 7F4C0BA6
	v_cvt_f32_i32_e32 v167, v167                               // 000000004C7C: 7F4E0BA7
	v_mul_f32_e32 v164, v15, v164                              // 000000004C80: 0B49490F
	v_mul_f32_e32 v165, v15, v165                              // 000000004C84: 0B4B4B0F
	v_mul_f32_e32 v166, v15, v166                              // 000000004C88: 0B4D4D0F
	v_mul_f32_e32 v167, v15, v167                              // 000000004C8C: 0B4F4F0F
	v_mul_f32_dpp v164, v17, v164 row_newbcast:0 row_mask:0xf bank_mask:0xf// 000000004C90: 0B4948FA FF015011
	v_mul_f32_dpp v165, v17, v165 row_newbcast:1 row_mask:0xf bank_mask:0xf// 000000004C98: 0B4B4AFA FF015111
	v_mul_f32_dpp v166, v17, v166 row_newbcast:2 row_mask:0xf bank_mask:0xf// 000000004CA0: 0B4D4CFA FF015211
	v_mul_f32_dpp v167, v17, v167 row_newbcast:3 row_mask:0xf bank_mask:0xf// 000000004CA8: 0B4F4EFA FF015311
	v_cvt_f32_i32_e32 v168, v168                               // 000000004CB0: 7F500BA8
	v_cvt_f32_i32_e32 v169, v169                               // 000000004CB4: 7F520BA9
	v_cvt_f32_i32_e32 v170, v170                               // 000000004CB8: 7F540BAA
	v_cvt_f32_i32_e32 v171, v171                               // 000000004CBC: 7F560BAB
	v_mul_f32_e32 v168, v14, v168                              // 000000004CC0: 0B51510E
	v_mul_f32_e32 v169, v14, v169                              // 000000004CC4: 0B53530E
	v_mul_f32_e32 v170, v14, v170                              // 000000004CC8: 0B55550E
	v_mul_f32_e32 v171, v14, v171                              // 000000004CCC: 0B57570E
	v_mul_f32_dpp v168, v17, v168 row_newbcast:4 row_mask:0xf bank_mask:0xf// 000000004CD0: 0B5150FA FF015411
	v_mul_f32_dpp v169, v17, v169 row_newbcast:5 row_mask:0xf bank_mask:0xf// 000000004CD8: 0B5352FA FF015511
	v_mul_f32_dpp v170, v17, v170 row_newbcast:6 row_mask:0xf bank_mask:0xf// 000000004CE0: 0B5554FA FF015611
	v_mul_f32_dpp v171, v17, v171 row_newbcast:7 row_mask:0xf bank_mask:0xf// 000000004CE8: 0B5756FA FF015711
	v_cvt_f32_i32_e32 v172, v172                               // 000000004CF0: 7F580BAC
	v_cvt_f32_i32_e32 v173, v173                               // 000000004CF4: 7F5A0BAD
	v_cvt_f32_i32_e32 v174, v174                               // 000000004CF8: 7F5C0BAE
	v_cvt_f32_i32_e32 v175, v175                               // 000000004CFC: 7F5E0BAF
	v_mul_f32_e32 v172, v15, v172                              // 000000004D00: 0B59590F
	v_mul_f32_e32 v173, v15, v173                              // 000000004D04: 0B5B5B0F
	v_mul_f32_e32 v174, v15, v174                              // 000000004D08: 0B5D5D0F
	v_mul_f32_e32 v175, v15, v175                              // 000000004D0C: 0B5F5F0F
	v_mul_f32_dpp v172, v17, v172 row_newbcast:4 row_mask:0xf bank_mask:0xf// 000000004D10: 0B5958FA FF015411
	v_mul_f32_dpp v173, v17, v173 row_newbcast:5 row_mask:0xf bank_mask:0xf// 000000004D18: 0B5B5AFA FF015511
	v_mul_f32_dpp v174, v17, v174 row_newbcast:6 row_mask:0xf bank_mask:0xf// 000000004D20: 0B5D5CFA FF015611
	v_mul_f32_dpp v175, v17, v175 row_newbcast:7 row_mask:0xf bank_mask:0xf// 000000004D28: 0B5F5EFA FF015711
	v_cvt_f32_i32_e32 v64, v64                                 // 000000004D30: 7E800B40
	v_cvt_f32_i32_e32 v65, v65                                 // 000000004D34: 7E820B41
	v_cvt_f32_i32_e32 v66, v66                                 // 000000004D38: 7E840B42
	v_cvt_f32_i32_e32 v67, v67                                 // 000000004D3C: 7E860B43
	v_mul_f32_e32 v64, v14, v64                                // 000000004D40: 0A80810E
	v_mul_f32_e32 v65, v14, v65                                // 000000004D44: 0A82830E
	v_mul_f32_e32 v66, v14, v66                                // 000000004D48: 0A84850E
	v_mul_f32_e32 v67, v14, v67                                // 000000004D4C: 0A86870E
	v_mul_f32_dpp v64, v48, v64 row_newbcast:0 row_mask:0xf bank_mask:0xf// 000000004D50: 0A8080FA FF015030
	v_mul_f32_dpp v65, v48, v65 row_newbcast:1 row_mask:0xf bank_mask:0xf// 000000004D58: 0A8282FA FF015130
	v_mul_f32_dpp v66, v48, v66 row_newbcast:2 row_mask:0xf bank_mask:0xf// 000000004D60: 0A8484FA FF015230
	v_mul_f32_dpp v67, v48, v67 row_newbcast:3 row_mask:0xf bank_mask:0xf// 000000004D68: 0A8686FA FF015330
	v_cvt_f32_i32_e32 v68, v68                                 // 000000004D70: 7E880B44
	v_cvt_f32_i32_e32 v69, v69                                 // 000000004D74: 7E8A0B45
	v_cvt_f32_i32_e32 v70, v70                                 // 000000004D78: 7E8C0B46
	v_cvt_f32_i32_e32 v71, v71                                 // 000000004D7C: 7E8E0B47
	v_mul_f32_e32 v68, v15, v68                                // 000000004D80: 0A88890F
	v_mul_f32_e32 v69, v15, v69                                // 000000004D84: 0A8A8B0F
	v_mul_f32_e32 v70, v15, v70                                // 000000004D88: 0A8C8D0F
	v_mul_f32_e32 v71, v15, v71                                // 000000004D8C: 0A8E8F0F
	v_mul_f32_dpp v68, v48, v68 row_newbcast:0 row_mask:0xf bank_mask:0xf// 000000004D90: 0A8888FA FF015030
	v_mul_f32_dpp v69, v48, v69 row_newbcast:1 row_mask:0xf bank_mask:0xf// 000000004D98: 0A8A8AFA FF015130
	v_mul_f32_dpp v70, v48, v70 row_newbcast:2 row_mask:0xf bank_mask:0xf// 000000004DA0: 0A8C8CFA FF015230
	v_mul_f32_dpp v71, v48, v71 row_newbcast:3 row_mask:0xf bank_mask:0xf// 000000004DA8: 0A8E8EFA FF015330
	v_cvt_f32_i32_e32 v72, v72                                 // 000000004DB0: 7E900B48
	v_cvt_f32_i32_e32 v73, v73                                 // 000000004DB4: 7E920B49
	v_cvt_f32_i32_e32 v74, v74                                 // 000000004DB8: 7E940B4A
	v_cvt_f32_i32_e32 v75, v75                                 // 000000004DBC: 7E960B4B
	v_mul_f32_e32 v72, v14, v72                                // 000000004DC0: 0A90910E
	v_mul_f32_e32 v73, v14, v73                                // 000000004DC4: 0A92930E
	v_mul_f32_e32 v74, v14, v74                                // 000000004DC8: 0A94950E
	v_mul_f32_e32 v75, v14, v75                                // 000000004DCC: 0A96970E
	v_mul_f32_dpp v72, v48, v72 row_newbcast:4 row_mask:0xf bank_mask:0xf// 000000004DD0: 0A9090FA FF015430
	v_mul_f32_dpp v73, v48, v73 row_newbcast:5 row_mask:0xf bank_mask:0xf// 000000004DD8: 0A9292FA FF015530
	v_mul_f32_dpp v74, v48, v74 row_newbcast:6 row_mask:0xf bank_mask:0xf// 000000004DE0: 0A9494FA FF015630
	v_mul_f32_dpp v75, v48, v75 row_newbcast:7 row_mask:0xf bank_mask:0xf// 000000004DE8: 0A9696FA FF015730
	v_cvt_f32_i32_e32 v76, v76                                 // 000000004DF0: 7E980B4C
	v_cvt_f32_i32_e32 v77, v77                                 // 000000004DF4: 7E9A0B4D
	v_cvt_f32_i32_e32 v78, v78                                 // 000000004DF8: 7E9C0B4E
	v_cvt_f32_i32_e32 v79, v79                                 // 000000004DFC: 7E9E0B4F
	v_mul_f32_e32 v76, v15, v76                                // 000000004E00: 0A98990F
	v_mul_f32_e32 v77, v15, v77                                // 000000004E04: 0A9A9B0F
	v_mul_f32_e32 v78, v15, v78                                // 000000004E08: 0A9C9D0F
	v_mul_f32_e32 v79, v15, v79                                // 000000004E0C: 0A9E9F0F
	v_mul_f32_dpp v76, v48, v76 row_newbcast:4 row_mask:0xf bank_mask:0xf// 000000004E10: 0A9898FA FF015430
	v_mul_f32_dpp v77, v48, v77 row_newbcast:5 row_mask:0xf bank_mask:0xf// 000000004E18: 0A9A9AFA FF015530
	v_mul_f32_dpp v78, v48, v78 row_newbcast:6 row_mask:0xf bank_mask:0xf// 000000004E20: 0A9C9CFA FF015630
	v_mul_f32_dpp v79, v48, v79 row_newbcast:7 row_mask:0xf bank_mask:0xf// 000000004E28: 0A9E9EFA FF015730
	v_cvt_f32_i32_e32 v80, v80                                 // 000000004E30: 7EA00B50
	v_cvt_f32_i32_e32 v81, v81                                 // 000000004E34: 7EA20B51
	v_cvt_f32_i32_e32 v82, v82                                 // 000000004E38: 7EA40B52
	v_cvt_f32_i32_e32 v83, v83                                 // 000000004E3C: 7EA60B53
	v_mul_f32_e32 v80, v14, v80                                // 000000004E40: 0AA0A10E
	v_mul_f32_e32 v81, v14, v81                                // 000000004E44: 0AA2A30E
	v_mul_f32_e32 v82, v14, v82                                // 000000004E48: 0AA4A50E
	v_mul_f32_e32 v83, v14, v83                                // 000000004E4C: 0AA6A70E
	v_mul_f32_dpp v80, v48, v80 row_newbcast:8 row_mask:0xf bank_mask:0xf// 000000004E50: 0AA0A0FA FF015830
	v_mul_f32_dpp v81, v48, v81 row_newbcast:9 row_mask:0xf bank_mask:0xf// 000000004E58: 0AA2A2FA FF015930
	v_mul_f32_dpp v82, v48, v82 row_newbcast:10 row_mask:0xf bank_mask:0xf// 000000004E60: 0AA4A4FA FF015A30
	v_mul_f32_dpp v83, v48, v83 row_newbcast:11 row_mask:0xf bank_mask:0xf// 000000004E68: 0AA6A6FA FF015B30
	v_cvt_f32_i32_e32 v84, v84                                 // 000000004E70: 7EA80B54
	v_cvt_f32_i32_e32 v85, v85                                 // 000000004E74: 7EAA0B55
	v_cvt_f32_i32_e32 v86, v86                                 // 000000004E78: 7EAC0B56
	v_cvt_f32_i32_e32 v87, v87                                 // 000000004E7C: 7EAE0B57
	v_mul_f32_e32 v84, v15, v84                                // 000000004E80: 0AA8A90F
	v_mul_f32_e32 v85, v15, v85                                // 000000004E84: 0AAAAB0F
	v_mul_f32_e32 v86, v15, v86                                // 000000004E88: 0AACAD0F
	v_mul_f32_e32 v87, v15, v87                                // 000000004E8C: 0AAEAF0F
	v_mul_f32_dpp v84, v48, v84 row_newbcast:8 row_mask:0xf bank_mask:0xf// 000000004E90: 0AA8A8FA FF015830
	v_mul_f32_dpp v85, v48, v85 row_newbcast:9 row_mask:0xf bank_mask:0xf// 000000004E98: 0AAAAAFA FF015930
	v_mul_f32_dpp v86, v48, v86 row_newbcast:10 row_mask:0xf bank_mask:0xf// 000000004EA0: 0AACACFA FF015A30
	v_mul_f32_dpp v87, v48, v87 row_newbcast:11 row_mask:0xf bank_mask:0xf// 000000004EA8: 0AAEAEFA FF015B30
	v_cvt_f32_i32_e32 v88, v88                                 // 000000004EB0: 7EB00B58
	v_cvt_f32_i32_e32 v89, v89                                 // 000000004EB4: 7EB20B59
	v_cvt_f32_i32_e32 v90, v90                                 // 000000004EB8: 7EB40B5A
	v_cvt_f32_i32_e32 v91, v91                                 // 000000004EBC: 7EB60B5B
	v_mul_f32_e32 v88, v14, v88                                // 000000004EC0: 0AB0B10E
	v_mul_f32_e32 v89, v14, v89                                // 000000004EC4: 0AB2B30E
	v_mul_f32_e32 v90, v14, v90                                // 000000004EC8: 0AB4B50E
	v_mul_f32_e32 v91, v14, v91                                // 000000004ECC: 0AB6B70E
	v_mul_f32_dpp v88, v48, v88 row_newbcast:12 row_mask:0xf bank_mask:0xf// 000000004ED0: 0AB0B0FA FF015C30
	v_mul_f32_dpp v89, v48, v89 row_newbcast:13 row_mask:0xf bank_mask:0xf// 000000004ED8: 0AB2B2FA FF015D30
	v_mul_f32_dpp v90, v48, v90 row_newbcast:14 row_mask:0xf bank_mask:0xf// 000000004EE0: 0AB4B4FA FF015E30
	v_mul_f32_dpp v91, v48, v91 row_newbcast:15 row_mask:0xf bank_mask:0xf// 000000004EE8: 0AB6B6FA FF015F30
	v_cvt_f32_i32_e32 v92, v92                                 // 000000004EF0: 7EB80B5C
	v_cvt_f32_i32_e32 v93, v93                                 // 000000004EF4: 7EBA0B5D
	v_cvt_f32_i32_e32 v94, v94                                 // 000000004EF8: 7EBC0B5E
	v_cvt_f32_i32_e32 v95, v95                                 // 000000004EFC: 7EBE0B5F
	v_mul_f32_e32 v92, v15, v92                                // 000000004F00: 0AB8B90F
	v_mul_f32_e32 v93, v15, v93                                // 000000004F04: 0ABABB0F
	v_mul_f32_e32 v94, v15, v94                                // 000000004F08: 0ABCBD0F
	v_mul_f32_e32 v95, v15, v95                                // 000000004F0C: 0ABEBF0F
	v_mul_f32_dpp v92, v48, v92 row_newbcast:12 row_mask:0xf bank_mask:0xf// 000000004F10: 0AB8B8FA FF015C30
	v_mul_f32_dpp v93, v48, v93 row_newbcast:13 row_mask:0xf bank_mask:0xf// 000000004F18: 0ABABAFA FF015D30
	v_mul_f32_dpp v94, v48, v94 row_newbcast:14 row_mask:0xf bank_mask:0xf// 000000004F20: 0ABCBCFA FF015E30
	v_mul_f32_dpp v95, v48, v95 row_newbcast:15 row_mask:0xf bank_mask:0xf// 000000004F28: 0ABEBEFA FF015F30
	v_cvt_f32_i32_e32 v96, v96                                 // 000000004F30: 7EC00B60
	v_cvt_f32_i32_e32 v97, v97                                 // 000000004F34: 7EC20B61
	v_cvt_f32_i32_e32 v98, v98                                 // 000000004F38: 7EC40B62
	v_cvt_f32_i32_e32 v99, v99                                 // 000000004F3C: 7EC60B63
	v_mul_f32_e32 v96, v14, v96                                // 000000004F40: 0AC0C10E
	v_mul_f32_e32 v97, v14, v97                                // 000000004F44: 0AC2C30E
	v_mul_f32_e32 v98, v14, v98                                // 000000004F48: 0AC4C50E
	v_mul_f32_e32 v99, v14, v99                                // 000000004F4C: 0AC6C70E
	v_mul_f32_dpp v96, v49, v96 row_newbcast:0 row_mask:0xf bank_mask:0xf// 000000004F50: 0AC0C0FA FF015031
	v_mul_f32_dpp v97, v49, v97 row_newbcast:1 row_mask:0xf bank_mask:0xf// 000000004F58: 0AC2C2FA FF015131
	v_mul_f32_dpp v98, v49, v98 row_newbcast:2 row_mask:0xf bank_mask:0xf// 000000004F60: 0AC4C4FA FF015231
	v_mul_f32_dpp v99, v49, v99 row_newbcast:3 row_mask:0xf bank_mask:0xf// 000000004F68: 0AC6C6FA FF015331
	v_cvt_f32_i32_e32 v100, v100                               // 000000004F70: 7EC80B64
	v_cvt_f32_i32_e32 v101, v101                               // 000000004F74: 7ECA0B65
	v_cvt_f32_i32_e32 v102, v102                               // 000000004F78: 7ECC0B66
	v_cvt_f32_i32_e32 v103, v103                               // 000000004F7C: 7ECE0B67
	v_mul_f32_e32 v100, v15, v100                              // 000000004F80: 0AC8C90F
	v_mul_f32_e32 v101, v15, v101                              // 000000004F84: 0ACACB0F
	v_mul_f32_e32 v102, v15, v102                              // 000000004F88: 0ACCCD0F
	v_mul_f32_e32 v103, v15, v103                              // 000000004F8C: 0ACECF0F
	v_mul_f32_dpp v100, v49, v100 row_newbcast:0 row_mask:0xf bank_mask:0xf// 000000004F90: 0AC8C8FA FF015031
	v_mul_f32_dpp v101, v49, v101 row_newbcast:1 row_mask:0xf bank_mask:0xf// 000000004F98: 0ACACAFA FF015131
	v_mul_f32_dpp v102, v49, v102 row_newbcast:2 row_mask:0xf bank_mask:0xf// 000000004FA0: 0ACCCCFA FF015231
	v_mul_f32_dpp v103, v49, v103 row_newbcast:3 row_mask:0xf bank_mask:0xf// 000000004FA8: 0ACECEFA FF015331
	v_cvt_f32_i32_e32 v104, v104                               // 000000004FB0: 7ED00B68
	v_cvt_f32_i32_e32 v105, v105                               // 000000004FB4: 7ED20B69
	v_cvt_f32_i32_e32 v106, v106                               // 000000004FB8: 7ED40B6A
	v_cvt_f32_i32_e32 v107, v107                               // 000000004FBC: 7ED60B6B
	v_mul_f32_e32 v104, v14, v104                              // 000000004FC0: 0AD0D10E
	v_mul_f32_e32 v105, v14, v105                              // 000000004FC4: 0AD2D30E
	v_mul_f32_e32 v106, v14, v106                              // 000000004FC8: 0AD4D50E
	v_mul_f32_e32 v107, v14, v107                              // 000000004FCC: 0AD6D70E
	v_mul_f32_dpp v104, v49, v104 row_newbcast:4 row_mask:0xf bank_mask:0xf// 000000004FD0: 0AD0D0FA FF015431
	v_mul_f32_dpp v105, v49, v105 row_newbcast:5 row_mask:0xf bank_mask:0xf// 000000004FD8: 0AD2D2FA FF015531
	v_mul_f32_dpp v106, v49, v106 row_newbcast:6 row_mask:0xf bank_mask:0xf// 000000004FE0: 0AD4D4FA FF015631
	v_mul_f32_dpp v107, v49, v107 row_newbcast:7 row_mask:0xf bank_mask:0xf// 000000004FE8: 0AD6D6FA FF015731
	v_cvt_f32_i32_e32 v108, v108                               // 000000004FF0: 7ED80B6C
	v_cvt_f32_i32_e32 v109, v109                               // 000000004FF4: 7EDA0B6D
	v_cvt_f32_i32_e32 v110, v110                               // 000000004FF8: 7EDC0B6E
	v_cvt_f32_i32_e32 v111, v111                               // 000000004FFC: 7EDE0B6F
	v_mul_f32_e32 v108, v15, v108                              // 000000005000: 0AD8D90F
	v_mul_f32_e32 v109, v15, v109                              // 000000005004: 0ADADB0F
	v_mul_f32_e32 v110, v15, v110                              // 000000005008: 0ADCDD0F
	v_mul_f32_e32 v111, v15, v111                              // 00000000500C: 0ADEDF0F
	v_mul_f32_dpp v108, v49, v108 row_newbcast:4 row_mask:0xf bank_mask:0xf// 000000005010: 0AD8D8FA FF015431
	v_mul_f32_dpp v109, v49, v109 row_newbcast:5 row_mask:0xf bank_mask:0xf// 000000005018: 0ADADAFA FF015531
	v_mul_f32_dpp v110, v49, v110 row_newbcast:6 row_mask:0xf bank_mask:0xf// 000000005020: 0ADCDCFA FF015631
	v_mul_f32_dpp v111, v49, v111 row_newbcast:7 row_mask:0xf bank_mask:0xf// 000000005028: 0ADEDEFA FF015731
	s_waitcnt vmcnt(20)                                        // 000000005030: BF8C4F74
	buffer_load_dwordx4 a[0:3], v40, s[12:15], 0 offen         // 000000005034: E05C1000 80830028
	v_mul_f32_e64 v50, -v128, s6                               // 00000000503C: D1050032 20000D80
	v_mul_f32_e64 v51, -v129, s6                               // 000000005044: D1050033 20000D81
	v_mul_f32_e64 v52, -v130, s6                               // 00000000504C: D1050034 20000D82
	v_mul_f32_e64 v53, -v131, s6                               // 000000005054: D1050035 20000D83
	v_exp_f32_e32 v50, v50                                     // 00000000505C: 7E644132
	v_exp_f32_e32 v51, v51                                     // 000000005060: 7E664133
	v_exp_f32_e32 v52, v52                                     // 000000005064: 7E684134
	v_exp_f32_e32 v53, v53                                     // 000000005068: 7E6A4135
	buffer_load_dwordx4 a[4:7], v41, s[12:15], 0 offen         // 00000000506C: E05C1000 80830429
	v_add_f32_e64 v50, v50, 1.0                                // 000000005074: D1010032 0001E532
	v_add_f32_e64 v51, v51, 1.0                                // 00000000507C: D1010033 0001E533
	v_add_f32_e64 v52, v52, 1.0                                // 000000005084: D1010034 0001E534
	v_add_f32_e64 v53, v53, 1.0                                // 00000000508C: D1010035 0001E535
	v_rcp_f32_e32 v50, v50                                     // 000000005094: 7E644532
	v_rcp_f32_e32 v51, v51                                     // 000000005098: 7E664533
	v_rcp_f32_e32 v52, v52                                     // 00000000509C: 7E684534
	v_rcp_f32_e32 v53, v53                                     // 0000000050A0: 7E6A4535
	v_mul_f32_e32 v128, v128, v50                              // 0000000050A4: 0B006580
	v_mul_f32_e32 v129, v129, v51                              // 0000000050A8: 0B026781
	v_mul_f32_e32 v130, v130, v52                              // 0000000050AC: 0B046982
	v_mul_f32_e32 v131, v131, v53                              // 0000000050B0: 0B066B83
	v_mul_f32_e32 v128, v128, v64                              // 0000000050B4: 0B008180
	v_mul_f32_e32 v129, v129, v65                              // 0000000050B8: 0B028381
	v_mul_f32_e32 v130, v130, v66                              // 0000000050BC: 0B048582
	v_mul_f32_e32 v131, v131, v67                              // 0000000050C0: 0B068783
	buffer_load_dwordx4 a[8:11], v42, s[12:15], 0 offen        // 0000000050C4: E05C1000 8083082A
	v_mul_f32_e64 v50, -v132, s6                               // 0000000050CC: D1050032 20000D84
	v_mul_f32_e64 v51, -v133, s6                               // 0000000050D4: D1050033 20000D85
	v_mul_f32_e64 v52, -v134, s6                               // 0000000050DC: D1050034 20000D86
	v_mul_f32_e64 v53, -v135, s6                               // 0000000050E4: D1050035 20000D87
	v_exp_f32_e32 v50, v50                                     // 0000000050EC: 7E644132
	v_exp_f32_e32 v51, v51                                     // 0000000050F0: 7E664133
	v_exp_f32_e32 v52, v52                                     // 0000000050F4: 7E684134
	v_exp_f32_e32 v53, v53                                     // 0000000050F8: 7E6A4135
	buffer_load_dwordx4 a[12:15], v43, s[12:15], 0 offen       // 0000000050FC: E05C1000 80830C2B
	s_add_u32 s12, s78, s12                                    // 000000005104: 800C0C4E
	s_addc_u32 s13, 0, s13                                     // 000000005108: 820D0D80
	v_add_f32_e64 v50, v50, 1.0                                // 00000000510C: D1010032 0001E532
	v_add_f32_e64 v51, v51, 1.0                                // 000000005114: D1010033 0001E533
	v_add_f32_e64 v52, v52, 1.0                                // 00000000511C: D1010034 0001E534
	v_add_f32_e64 v53, v53, 1.0                                // 000000005124: D1010035 0001E535
	v_rcp_f32_e32 v50, v50                                     // 00000000512C: 7E644532
	v_rcp_f32_e32 v51, v51                                     // 000000005130: 7E664533
	v_rcp_f32_e32 v52, v52                                     // 000000005134: 7E684534
	v_rcp_f32_e32 v53, v53                                     // 000000005138: 7E6A4535
	v_mul_f32_e32 v132, v132, v50                              // 00000000513C: 0B086584
	v_mul_f32_e32 v133, v133, v51                              // 000000005140: 0B0A6785
	v_mul_f32_e32 v134, v134, v52                              // 000000005144: 0B0C6986
	v_mul_f32_e32 v135, v135, v53                              // 000000005148: 0B0E6B87
	v_mul_f32_e32 v132, v132, v68                              // 00000000514C: 0B088984
	v_mul_f32_e32 v133, v133, v69                              // 000000005150: 0B0A8B85
	v_mul_f32_e32 v134, v134, v70                              // 000000005154: 0B0C8D86
	v_mul_f32_e32 v135, v135, v71                              // 000000005158: 0B0E8F87
	s_waitcnt vmcnt(20)                                        // 00000000515C: BF8C4F74
	buffer_load_dwordx4 a[16:19], v40, s[12:15], 0 offen       // 000000005160: E05C1000 80831028
	v_mul_f32_e64 v50, -v136, s6                               // 000000005168: D1050032 20000D88
	v_mul_f32_e64 v51, -v137, s6                               // 000000005170: D1050033 20000D89
	v_mul_f32_e64 v52, -v138, s6                               // 000000005178: D1050034 20000D8A
	v_mul_f32_e64 v53, -v139, s6                               // 000000005180: D1050035 20000D8B
	v_exp_f32_e32 v50, v50                                     // 000000005188: 7E644132
	v_exp_f32_e32 v51, v51                                     // 00000000518C: 7E664133
	v_exp_f32_e32 v52, v52                                     // 000000005190: 7E684134
	v_exp_f32_e32 v53, v53                                     // 000000005194: 7E6A4135
	buffer_load_dwordx4 a[20:23], v41, s[12:15], 0 offen       // 000000005198: E05C1000 80831429
	v_add_f32_e64 v50, v50, 1.0                                // 0000000051A0: D1010032 0001E532
	v_add_f32_e64 v51, v51, 1.0                                // 0000000051A8: D1010033 0001E533
	v_add_f32_e64 v52, v52, 1.0                                // 0000000051B0: D1010034 0001E534
	v_add_f32_e64 v53, v53, 1.0                                // 0000000051B8: D1010035 0001E535
	v_rcp_f32_e32 v50, v50                                     // 0000000051C0: 7E644532
	v_rcp_f32_e32 v51, v51                                     // 0000000051C4: 7E664533
	v_rcp_f32_e32 v52, v52                                     // 0000000051C8: 7E684534
	v_rcp_f32_e32 v53, v53                                     // 0000000051CC: 7E6A4535
	v_mul_f32_e32 v136, v136, v50                              // 0000000051D0: 0B106588
	v_mul_f32_e32 v137, v137, v51                              // 0000000051D4: 0B126789
	v_mul_f32_e32 v138, v138, v52                              // 0000000051D8: 0B14698A
	v_mul_f32_e32 v139, v139, v53                              // 0000000051DC: 0B166B8B
	v_mul_f32_e32 v136, v136, v72                              // 0000000051E0: 0B109188
	v_mul_f32_e32 v137, v137, v73                              // 0000000051E4: 0B129389
	v_mul_f32_e32 v138, v138, v74                              // 0000000051E8: 0B14958A
	v_mul_f32_e32 v139, v139, v75                              // 0000000051EC: 0B16978B
	buffer_load_dwordx4 a[24:27], v42, s[12:15], 0 offen       // 0000000051F0: E05C1000 8083182A
	v_mul_f32_e64 v50, -v140, s6                               // 0000000051F8: D1050032 20000D8C
	v_mul_f32_e64 v51, -v141, s6                               // 000000005200: D1050033 20000D8D
	v_mul_f32_e64 v52, -v142, s6                               // 000000005208: D1050034 20000D8E
	v_mul_f32_e64 v53, -v143, s6                               // 000000005210: D1050035 20000D8F
	v_exp_f32_e32 v50, v50                                     // 000000005218: 7E644132
	v_exp_f32_e32 v51, v51                                     // 00000000521C: 7E664133
	v_exp_f32_e32 v52, v52                                     // 000000005220: 7E684134
	v_exp_f32_e32 v53, v53                                     // 000000005224: 7E6A4135
	buffer_load_dwordx4 a[28:31], v43, s[12:15], 0 offen       // 000000005228: E05C1000 80831C2B
	s_add_u32 s12, s78, s12                                    // 000000005230: 800C0C4E
	s_addc_u32 s13, 0, s13                                     // 000000005234: 820D0D80
	v_add_f32_e64 v50, v50, 1.0                                // 000000005238: D1010032 0001E532
	v_add_f32_e64 v51, v51, 1.0                                // 000000005240: D1010033 0001E533
	v_add_f32_e64 v52, v52, 1.0                                // 000000005248: D1010034 0001E534
	v_add_f32_e64 v53, v53, 1.0                                // 000000005250: D1010035 0001E535
	v_rcp_f32_e32 v50, v50                                     // 000000005258: 7E644532
	v_rcp_f32_e32 v51, v51                                     // 00000000525C: 7E664533
	v_rcp_f32_e32 v52, v52                                     // 000000005260: 7E684534
	v_rcp_f32_e32 v53, v53                                     // 000000005264: 7E6A4535
	v_mul_f32_e32 v140, v140, v50                              // 000000005268: 0B18658C
	v_mul_f32_e32 v141, v141, v51                              // 00000000526C: 0B1A678D
	v_mul_f32_e32 v142, v142, v52                              // 000000005270: 0B1C698E
	v_mul_f32_e32 v143, v143, v53                              // 000000005274: 0B1E6B8F
	v_mul_f32_e32 v140, v140, v76                              // 000000005278: 0B18998C
	v_mul_f32_e32 v141, v141, v77                              // 00000000527C: 0B1A9B8D
	v_mul_f32_e32 v142, v142, v78                              // 000000005280: 0B1C9D8E
	v_mul_f32_e32 v143, v143, v79                              // 000000005284: 0B1E9F8F
	s_waitcnt vmcnt(20)                                        // 000000005288: BF8C4F74
	buffer_load_dwordx4 a[32:35], v40, s[12:15], 0 offen       // 00000000528C: E05C1000 80832028
	v_mul_f32_e64 v50, -v144, s6                               // 000000005294: D1050032 20000D90
	v_mul_f32_e64 v51, -v145, s6                               // 00000000529C: D1050033 20000D91
	v_mul_f32_e64 v52, -v146, s6                               // 0000000052A4: D1050034 20000D92
	v_mul_f32_e64 v53, -v147, s6                               // 0000000052AC: D1050035 20000D93
	v_exp_f32_e32 v50, v50                                     // 0000000052B4: 7E644132
	v_exp_f32_e32 v51, v51                                     // 0000000052B8: 7E664133
	v_exp_f32_e32 v52, v52                                     // 0000000052BC: 7E684134
	v_exp_f32_e32 v53, v53                                     // 0000000052C0: 7E6A4135
	buffer_load_dwordx4 a[36:39], v41, s[12:15], 0 offen       // 0000000052C4: E05C1000 80832429
	v_add_f32_e64 v50, v50, 1.0                                // 0000000052CC: D1010032 0001E532
	v_add_f32_e64 v51, v51, 1.0                                // 0000000052D4: D1010033 0001E533
	v_add_f32_e64 v52, v52, 1.0                                // 0000000052DC: D1010034 0001E534
	v_add_f32_e64 v53, v53, 1.0                                // 0000000052E4: D1010035 0001E535
	v_rcp_f32_e32 v50, v50                                     // 0000000052EC: 7E644532
	v_rcp_f32_e32 v51, v51                                     // 0000000052F0: 7E664533
	v_rcp_f32_e32 v52, v52                                     // 0000000052F4: 7E684534
	v_rcp_f32_e32 v53, v53                                     // 0000000052F8: 7E6A4535
	v_mul_f32_e32 v144, v144, v50                              // 0000000052FC: 0B206590
	v_mul_f32_e32 v145, v145, v51                              // 000000005300: 0B226791
	v_mul_f32_e32 v146, v146, v52                              // 000000005304: 0B246992
	v_mul_f32_e32 v147, v147, v53                              // 000000005308: 0B266B93
	v_mul_f32_e32 v144, v144, v80                              // 00000000530C: 0B20A190
	v_mul_f32_e32 v145, v145, v81                              // 000000005310: 0B22A391
	v_mul_f32_e32 v146, v146, v82                              // 000000005314: 0B24A592
	v_mul_f32_e32 v147, v147, v83                              // 000000005318: 0B26A793
	buffer_load_dwordx4 a[40:43], v42, s[12:15], 0 offen       // 00000000531C: E05C1000 8083282A
	v_mul_f32_e64 v50, -v148, s6                               // 000000005324: D1050032 20000D94
	v_mul_f32_e64 v51, -v149, s6                               // 00000000532C: D1050033 20000D95
	v_mul_f32_e64 v52, -v150, s6                               // 000000005334: D1050034 20000D96
	v_mul_f32_e64 v53, -v151, s6                               // 00000000533C: D1050035 20000D97
	v_exp_f32_e32 v50, v50                                     // 000000005344: 7E644132
	v_exp_f32_e32 v51, v51                                     // 000000005348: 7E664133
	v_exp_f32_e32 v52, v52                                     // 00000000534C: 7E684134
	v_exp_f32_e32 v53, v53                                     // 000000005350: 7E6A4135
	buffer_load_dwordx4 a[44:47], v43, s[12:15], 0 offen       // 000000005354: E05C1000 80832C2B
	s_add_u32 s12, s78, s12                                    // 00000000535C: 800C0C4E
	s_addc_u32 s13, 0, s13                                     // 000000005360: 820D0D80
	v_add_f32_e64 v50, v50, 1.0                                // 000000005364: D1010032 0001E532
	v_add_f32_e64 v51, v51, 1.0                                // 00000000536C: D1010033 0001E533
	v_add_f32_e64 v52, v52, 1.0                                // 000000005374: D1010034 0001E534
	v_add_f32_e64 v53, v53, 1.0                                // 00000000537C: D1010035 0001E535
	v_rcp_f32_e32 v50, v50                                     // 000000005384: 7E644532
	v_rcp_f32_e32 v51, v51                                     // 000000005388: 7E664533
	v_rcp_f32_e32 v52, v52                                     // 00000000538C: 7E684534
	v_rcp_f32_e32 v53, v53                                     // 000000005390: 7E6A4535
	v_mul_f32_e32 v148, v148, v50                              // 000000005394: 0B286594
	v_mul_f32_e32 v149, v149, v51                              // 000000005398: 0B2A6795
	v_mul_f32_e32 v150, v150, v52                              // 00000000539C: 0B2C6996
	v_mul_f32_e32 v151, v151, v53                              // 0000000053A0: 0B2E6B97
	v_mul_f32_e32 v148, v148, v84                              // 0000000053A4: 0B28A994
	v_mul_f32_e32 v149, v149, v85                              // 0000000053A8: 0B2AAB95
	v_mul_f32_e32 v150, v150, v86                              // 0000000053AC: 0B2CAD96
	v_mul_f32_e32 v151, v151, v87                              // 0000000053B0: 0B2EAF97
	s_waitcnt vmcnt(20)                                        // 0000000053B4: BF8C4F74
	buffer_load_dwordx4 a[48:51], v40, s[12:15], 0 offen       // 0000000053B8: E05C1000 80833028
	v_mul_f32_e64 v50, -v152, s6                               // 0000000053C0: D1050032 20000D98
	v_mul_f32_e64 v51, -v153, s6                               // 0000000053C8: D1050033 20000D99
	v_mul_f32_e64 v52, -v154, s6                               // 0000000053D0: D1050034 20000D9A
	v_mul_f32_e64 v53, -v155, s6                               // 0000000053D8: D1050035 20000D9B
	v_exp_f32_e32 v50, v50                                     // 0000000053E0: 7E644132
	v_exp_f32_e32 v51, v51                                     // 0000000053E4: 7E664133
	v_exp_f32_e32 v52, v52                                     // 0000000053E8: 7E684134
	v_exp_f32_e32 v53, v53                                     // 0000000053EC: 7E6A4135
	buffer_load_dwordx4 a[52:55], v41, s[12:15], 0 offen       // 0000000053F0: E05C1000 80833429
	v_add_f32_e64 v50, v50, 1.0                                // 0000000053F8: D1010032 0001E532
	v_add_f32_e64 v51, v51, 1.0                                // 000000005400: D1010033 0001E533
	v_add_f32_e64 v52, v52, 1.0                                // 000000005408: D1010034 0001E534
	v_add_f32_e64 v53, v53, 1.0                                // 000000005410: D1010035 0001E535
	v_rcp_f32_e32 v50, v50                                     // 000000005418: 7E644532
	v_rcp_f32_e32 v51, v51                                     // 00000000541C: 7E664533
	v_rcp_f32_e32 v52, v52                                     // 000000005420: 7E684534
	v_rcp_f32_e32 v53, v53                                     // 000000005424: 7E6A4535
	v_mul_f32_e32 v152, v152, v50                              // 000000005428: 0B306598
	v_mul_f32_e32 v153, v153, v51                              // 00000000542C: 0B326799
	v_mul_f32_e32 v154, v154, v52                              // 000000005430: 0B34699A
	v_mul_f32_e32 v155, v155, v53                              // 000000005434: 0B366B9B
	v_mul_f32_e32 v152, v152, v88                              // 000000005438: 0B30B198
	v_mul_f32_e32 v153, v153, v89                              // 00000000543C: 0B32B399
	v_mul_f32_e32 v154, v154, v90                              // 000000005440: 0B34B59A
	v_mul_f32_e32 v155, v155, v91                              // 000000005444: 0B36B79B
	buffer_load_dwordx4 a[56:59], v42, s[12:15], 0 offen       // 000000005448: E05C1000 8083382A
	v_mul_f32_e64 v50, -v156, s6                               // 000000005450: D1050032 20000D9C
	v_mul_f32_e64 v51, -v157, s6                               // 000000005458: D1050033 20000D9D
	v_mul_f32_e64 v52, -v158, s6                               // 000000005460: D1050034 20000D9E
	v_mul_f32_e64 v53, -v159, s6                               // 000000005468: D1050035 20000D9F
	v_exp_f32_e32 v50, v50                                     // 000000005470: 7E644132
	v_exp_f32_e32 v51, v51                                     // 000000005474: 7E664133
	v_exp_f32_e32 v52, v52                                     // 000000005478: 7E684134
	v_exp_f32_e32 v53, v53                                     // 00000000547C: 7E6A4135
	buffer_load_dwordx4 a[60:63], v43, s[12:15], 0 offen       // 000000005480: E05C1000 80833C2B
	s_add_u32 s12, s78, s12                                    // 000000005488: 800C0C4E
	s_addc_u32 s13, 0, s13                                     // 00000000548C: 820D0D80
	v_add_f32_e64 v50, v50, 1.0                                // 000000005490: D1010032 0001E532
	v_add_f32_e64 v51, v51, 1.0                                // 000000005498: D1010033 0001E533
	v_add_f32_e64 v52, v52, 1.0                                // 0000000054A0: D1010034 0001E534
	v_add_f32_e64 v53, v53, 1.0                                // 0000000054A8: D1010035 0001E535
	v_rcp_f32_e32 v50, v50                                     // 0000000054B0: 7E644532
	v_rcp_f32_e32 v51, v51                                     // 0000000054B4: 7E664533
	v_rcp_f32_e32 v52, v52                                     // 0000000054B8: 7E684534
	v_rcp_f32_e32 v53, v53                                     // 0000000054BC: 7E6A4535
	v_mul_f32_e32 v156, v156, v50                              // 0000000054C0: 0B38659C
	v_mul_f32_e32 v157, v157, v51                              // 0000000054C4: 0B3A679D
	v_mul_f32_e32 v158, v158, v52                              // 0000000054C8: 0B3C699E
	v_mul_f32_e32 v159, v159, v53                              // 0000000054CC: 0B3E6B9F
	v_mul_f32_e32 v156, v156, v92                              // 0000000054D0: 0B38B99C
	v_mul_f32_e32 v157, v157, v93                              // 0000000054D4: 0B3ABB9D
	v_mul_f32_e32 v158, v158, v94                              // 0000000054D8: 0B3CBD9E
	v_mul_f32_e32 v159, v159, v95                              // 0000000054DC: 0B3EBF9F
	s_waitcnt vmcnt(20)                                        // 0000000054E0: BF8C4F74
	buffer_load_dwordx4 a[64:67], v40, s[12:15], 0 offen       // 0000000054E4: E05C1000 80834028
	v_mul_f32_e64 v50, -v160, s6                               // 0000000054EC: D1050032 20000DA0
	v_mul_f32_e64 v51, -v161, s6                               // 0000000054F4: D1050033 20000DA1
	v_mul_f32_e64 v52, -v162, s6                               // 0000000054FC: D1050034 20000DA2
	v_mul_f32_e64 v53, -v163, s6                               // 000000005504: D1050035 20000DA3
	v_exp_f32_e32 v50, v50                                     // 00000000550C: 7E644132
	v_exp_f32_e32 v51, v51                                     // 000000005510: 7E664133
	v_exp_f32_e32 v52, v52                                     // 000000005514: 7E684134
	v_exp_f32_e32 v53, v53                                     // 000000005518: 7E6A4135
	buffer_load_dwordx4 a[68:71], v41, s[12:15], 0 offen       // 00000000551C: E05C1000 80834429
	v_add_f32_e64 v50, v50, 1.0                                // 000000005524: D1010032 0001E532
	v_add_f32_e64 v51, v51, 1.0                                // 00000000552C: D1010033 0001E533
	v_add_f32_e64 v52, v52, 1.0                                // 000000005534: D1010034 0001E534
	v_add_f32_e64 v53, v53, 1.0                                // 00000000553C: D1010035 0001E535
	v_rcp_f32_e32 v50, v50                                     // 000000005544: 7E644532
	v_rcp_f32_e32 v51, v51                                     // 000000005548: 7E664533
	v_rcp_f32_e32 v52, v52                                     // 00000000554C: 7E684534
	v_rcp_f32_e32 v53, v53                                     // 000000005550: 7E6A4535
	v_mul_f32_e32 v160, v160, v50                              // 000000005554: 0B4065A0
	v_mul_f32_e32 v161, v161, v51                              // 000000005558: 0B4267A1
	v_mul_f32_e32 v162, v162, v52                              // 00000000555C: 0B4469A2
	v_mul_f32_e32 v163, v163, v53                              // 000000005560: 0B466BA3
	v_mul_f32_e32 v160, v160, v96                              // 000000005564: 0B40C1A0
	v_mul_f32_e32 v161, v161, v97                              // 000000005568: 0B42C3A1
	v_mul_f32_e32 v162, v162, v98                              // 00000000556C: 0B44C5A2
	v_mul_f32_e32 v163, v163, v99                              // 000000005570: 0B46C7A3
	buffer_load_dwordx4 a[72:75], v42, s[12:15], 0 offen       // 000000005574: E05C1000 8083482A
	v_mul_f32_e64 v50, -v164, s6                               // 00000000557C: D1050032 20000DA4
	v_mul_f32_e64 v51, -v165, s6                               // 000000005584: D1050033 20000DA5
	v_mul_f32_e64 v52, -v166, s6                               // 00000000558C: D1050034 20000DA6
	v_mul_f32_e64 v53, -v167, s6                               // 000000005594: D1050035 20000DA7
	v_exp_f32_e32 v50, v50                                     // 00000000559C: 7E644132
	v_exp_f32_e32 v51, v51                                     // 0000000055A0: 7E664133
	v_exp_f32_e32 v52, v52                                     // 0000000055A4: 7E684134
	v_exp_f32_e32 v53, v53                                     // 0000000055A8: 7E6A4135
	buffer_load_dwordx4 a[76:79], v43, s[12:15], 0 offen       // 0000000055AC: E05C1000 80834C2B
	s_add_u32 s12, s78, s12                                    // 0000000055B4: 800C0C4E
	s_addc_u32 s13, 0, s13                                     // 0000000055B8: 820D0D80
	v_add_f32_e64 v50, v50, 1.0                                // 0000000055BC: D1010032 0001E532
	v_add_f32_e64 v51, v51, 1.0                                // 0000000055C4: D1010033 0001E533
	v_add_f32_e64 v52, v52, 1.0                                // 0000000055CC: D1010034 0001E534
	v_add_f32_e64 v53, v53, 1.0                                // 0000000055D4: D1010035 0001E535
	v_rcp_f32_e32 v50, v50                                     // 0000000055DC: 7E644532
	v_rcp_f32_e32 v51, v51                                     // 0000000055E0: 7E664533
	v_rcp_f32_e32 v52, v52                                     // 0000000055E4: 7E684534
	v_rcp_f32_e32 v53, v53                                     // 0000000055E8: 7E6A4535
	v_mul_f32_e32 v164, v164, v50                              // 0000000055EC: 0B4865A4
	v_mul_f32_e32 v165, v165, v51                              // 0000000055F0: 0B4A67A5
	v_mul_f32_e32 v166, v166, v52                              // 0000000055F4: 0B4C69A6
	v_mul_f32_e32 v167, v167, v53                              // 0000000055F8: 0B4E6BA7
	v_mul_f32_e32 v164, v164, v100                             // 0000000055FC: 0B48C9A4
	v_mul_f32_e32 v165, v165, v101                             // 000000005600: 0B4ACBA5
	v_mul_f32_e32 v166, v166, v102                             // 000000005604: 0B4CCDA6
	v_mul_f32_e32 v167, v167, v103                             // 000000005608: 0B4ECFA7
	s_waitcnt vmcnt(20)                                        // 00000000560C: BF8C4F74
	buffer_load_dwordx4 a[80:83], v40, s[12:15], 0 offen       // 000000005610: E05C1000 80835028
	v_mul_f32_e64 v50, -v168, s6                               // 000000005618: D1050032 20000DA8
	v_mul_f32_e64 v51, -v169, s6                               // 000000005620: D1050033 20000DA9
	v_mul_f32_e64 v52, -v170, s6                               // 000000005628: D1050034 20000DAA
	v_mul_f32_e64 v53, -v171, s6                               // 000000005630: D1050035 20000DAB
	v_exp_f32_e32 v50, v50                                     // 000000005638: 7E644132
	v_exp_f32_e32 v51, v51                                     // 00000000563C: 7E664133
	v_exp_f32_e32 v52, v52                                     // 000000005640: 7E684134
	v_exp_f32_e32 v53, v53                                     // 000000005644: 7E6A4135
	buffer_load_dwordx4 a[84:87], v41, s[12:15], 0 offen       // 000000005648: E05C1000 80835429
	v_add_f32_e64 v50, v50, 1.0                                // 000000005650: D1010032 0001E532
	v_add_f32_e64 v51, v51, 1.0                                // 000000005658: D1010033 0001E533
	v_add_f32_e64 v52, v52, 1.0                                // 000000005660: D1010034 0001E534
	v_add_f32_e64 v53, v53, 1.0                                // 000000005668: D1010035 0001E535
	v_rcp_f32_e32 v50, v50                                     // 000000005670: 7E644532
	v_rcp_f32_e32 v51, v51                                     // 000000005674: 7E664533
	v_rcp_f32_e32 v52, v52                                     // 000000005678: 7E684534
	v_rcp_f32_e32 v53, v53                                     // 00000000567C: 7E6A4535
	v_mul_f32_e32 v168, v168, v50                              // 000000005680: 0B5065A8
	v_mul_f32_e32 v169, v169, v51                              // 000000005684: 0B5267A9
	v_mul_f32_e32 v170, v170, v52                              // 000000005688: 0B5469AA
	v_mul_f32_e32 v171, v171, v53                              // 00000000568C: 0B566BAB
	v_mul_f32_e32 v168, v168, v104                             // 000000005690: 0B50D1A8
	v_mul_f32_e32 v169, v169, v105                             // 000000005694: 0B52D3A9
	v_mul_f32_e32 v170, v170, v106                             // 000000005698: 0B54D5AA
	v_mul_f32_e32 v171, v171, v107                             // 00000000569C: 0B56D7AB
	buffer_load_dwordx4 a[88:91], v42, s[12:15], 0 offen       // 0000000056A0: E05C1000 8083582A
	v_mul_f32_e64 v50, -v172, s6                               // 0000000056A8: D1050032 20000DAC
	v_mul_f32_e64 v51, -v173, s6                               // 0000000056B0: D1050033 20000DAD
	v_mul_f32_e64 v52, -v174, s6                               // 0000000056B8: D1050034 20000DAE
	v_mul_f32_e64 v53, -v175, s6                               // 0000000056C0: D1050035 20000DAF
	v_exp_f32_e32 v50, v50                                     // 0000000056C8: 7E644132
	v_exp_f32_e32 v51, v51                                     // 0000000056CC: 7E664133
	v_exp_f32_e32 v52, v52                                     // 0000000056D0: 7E684134
	v_exp_f32_e32 v53, v53                                     // 0000000056D4: 7E6A4135
	buffer_load_dwordx4 a[92:95], v43, s[12:15], 0 offen       // 0000000056D8: E05C1000 80835C2B
	v_add_f32_e64 v50, v50, 1.0                                // 0000000056E0: D1010032 0001E532
	v_add_f32_e64 v51, v51, 1.0                                // 0000000056E8: D1010033 0001E533
	v_add_f32_e64 v52, v52, 1.0                                // 0000000056F0: D1010034 0001E534
	v_add_f32_e64 v53, v53, 1.0                                // 0000000056F8: D1010035 0001E535
	v_rcp_f32_e32 v50, v50                                     // 000000005700: 7E644532
	v_rcp_f32_e32 v51, v51                                     // 000000005704: 7E664533
	v_rcp_f32_e32 v52, v52                                     // 000000005708: 7E684534
	v_rcp_f32_e32 v53, v53                                     // 00000000570C: 7E6A4535
	v_mul_f32_e32 v172, v172, v50                              // 000000005710: 0B5865AC
	v_mul_f32_e32 v173, v173, v51                              // 000000005714: 0B5A67AD
	v_mul_f32_e32 v174, v174, v52                              // 000000005718: 0B5C69AE
	v_mul_f32_e32 v175, v175, v53                              // 00000000571C: 0B5E6BAF
	v_mul_f32_e32 v172, v172, v108                             // 000000005720: 0B58D9AC
	v_mul_f32_e32 v173, v173, v109                             // 000000005724: 0B5ADBAD
	v_mul_f32_e32 v174, v174, v110                             // 000000005728: 0B5CDDAE
	v_mul_f32_e32 v175, v175, v111                             // 00000000572C: 0B5EDFAF
	v_mul_f32_dpp v128, v18, v128 row_newbcast:0 row_mask:0xf bank_mask:0xf// 000000005730: 0B0100FA FF015012
	v_mul_f32_dpp v129, v18, v129 row_newbcast:1 row_mask:0xf bank_mask:0xf// 000000005738: 0B0302FA FF015112
	v_mul_f32_dpp v130, v18, v130 row_newbcast:2 row_mask:0xf bank_mask:0xf// 000000005740: 0B0504FA FF015212
	v_mul_f32_dpp v131, v18, v131 row_newbcast:3 row_mask:0xf bank_mask:0xf// 000000005748: 0B0706FA FF015312
	v_mul_f32_dpp v132, v18, v132 row_newbcast:0 row_mask:0xf bank_mask:0xf// 000000005750: 0B0908FA FF015012
	v_mul_f32_dpp v133, v18, v133 row_newbcast:1 row_mask:0xf bank_mask:0xf// 000000005758: 0B0B0AFA FF015112
	v_mul_f32_dpp v134, v18, v134 row_newbcast:2 row_mask:0xf bank_mask:0xf// 000000005760: 0B0D0CFA FF015212
	v_mul_f32_dpp v135, v18, v135 row_newbcast:3 row_mask:0xf bank_mask:0xf// 000000005768: 0B0F0EFA FF015312
	v_mul_f32_dpp v136, v18, v136 row_newbcast:4 row_mask:0xf bank_mask:0xf// 000000005770: 0B1110FA FF015412
	v_mul_f32_dpp v137, v18, v137 row_newbcast:5 row_mask:0xf bank_mask:0xf// 000000005778: 0B1312FA FF015512
	v_mul_f32_dpp v138, v18, v138 row_newbcast:6 row_mask:0xf bank_mask:0xf// 000000005780: 0B1514FA FF015612
	v_mul_f32_dpp v139, v18, v139 row_newbcast:7 row_mask:0xf bank_mask:0xf// 000000005788: 0B1716FA FF015712
	v_mul_f32_dpp v140, v18, v140 row_newbcast:4 row_mask:0xf bank_mask:0xf// 000000005790: 0B1918FA FF015412
	v_mul_f32_dpp v141, v18, v141 row_newbcast:5 row_mask:0xf bank_mask:0xf// 000000005798: 0B1B1AFA FF015512
	v_mul_f32_dpp v142, v18, v142 row_newbcast:6 row_mask:0xf bank_mask:0xf// 0000000057A0: 0B1D1CFA FF015612
	v_mul_f32_dpp v143, v18, v143 row_newbcast:7 row_mask:0xf bank_mask:0xf// 0000000057A8: 0B1F1EFA FF015712
	v_mul_f32_dpp v144, v18, v144 row_newbcast:8 row_mask:0xf bank_mask:0xf// 0000000057B0: 0B2120FA FF015812
	v_mul_f32_dpp v145, v18, v145 row_newbcast:9 row_mask:0xf bank_mask:0xf// 0000000057B8: 0B2322FA FF015912
	v_mul_f32_dpp v146, v18, v146 row_newbcast:10 row_mask:0xf bank_mask:0xf// 0000000057C0: 0B2524FA FF015A12
	v_mul_f32_dpp v147, v18, v147 row_newbcast:11 row_mask:0xf bank_mask:0xf// 0000000057C8: 0B2726FA FF015B12
	v_mul_f32_dpp v148, v18, v148 row_newbcast:8 row_mask:0xf bank_mask:0xf// 0000000057D0: 0B2928FA FF015812
	v_mul_f32_dpp v149, v18, v149 row_newbcast:9 row_mask:0xf bank_mask:0xf// 0000000057D8: 0B2B2AFA FF015912
	v_mul_f32_dpp v150, v18, v150 row_newbcast:10 row_mask:0xf bank_mask:0xf// 0000000057E0: 0B2D2CFA FF015A12
	v_mul_f32_dpp v151, v18, v151 row_newbcast:11 row_mask:0xf bank_mask:0xf// 0000000057E8: 0B2F2EFA FF015B12
	v_mul_f32_dpp v152, v18, v152 row_newbcast:12 row_mask:0xf bank_mask:0xf// 0000000057F0: 0B3130FA FF015C12
	v_mul_f32_dpp v153, v18, v153 row_newbcast:13 row_mask:0xf bank_mask:0xf// 0000000057F8: 0B3332FA FF015D12
	v_mul_f32_dpp v154, v18, v154 row_newbcast:14 row_mask:0xf bank_mask:0xf// 000000005800: 0B3534FA FF015E12
	v_mul_f32_dpp v155, v18, v155 row_newbcast:15 row_mask:0xf bank_mask:0xf// 000000005808: 0B3736FA FF015F12
	v_mul_f32_dpp v156, v18, v156 row_newbcast:12 row_mask:0xf bank_mask:0xf// 000000005810: 0B3938FA FF015C12
	v_mul_f32_dpp v157, v18, v157 row_newbcast:13 row_mask:0xf bank_mask:0xf// 000000005818: 0B3B3AFA FF015D12
	v_mul_f32_dpp v158, v18, v158 row_newbcast:14 row_mask:0xf bank_mask:0xf// 000000005820: 0B3D3CFA FF015E12
	v_mul_f32_dpp v159, v18, v159 row_newbcast:15 row_mask:0xf bank_mask:0xf// 000000005828: 0B3F3EFA FF015F12
	v_mul_f32_dpp v160, v19, v160 row_newbcast:0 row_mask:0xf bank_mask:0xf// 000000005830: 0B4140FA FF015013
	v_mul_f32_dpp v161, v19, v161 row_newbcast:1 row_mask:0xf bank_mask:0xf// 000000005838: 0B4342FA FF015113
	v_mul_f32_dpp v162, v19, v162 row_newbcast:2 row_mask:0xf bank_mask:0xf// 000000005840: 0B4544FA FF015213
	v_mul_f32_dpp v163, v19, v163 row_newbcast:3 row_mask:0xf bank_mask:0xf// 000000005848: 0B4746FA FF015313
	v_mul_f32_dpp v164, v19, v164 row_newbcast:0 row_mask:0xf bank_mask:0xf// 000000005850: 0B4948FA FF015013
	v_mul_f32_dpp v165, v19, v165 row_newbcast:1 row_mask:0xf bank_mask:0xf// 000000005858: 0B4B4AFA FF015113
	v_mul_f32_dpp v166, v19, v166 row_newbcast:2 row_mask:0xf bank_mask:0xf// 000000005860: 0B4D4CFA FF015213
	v_mul_f32_dpp v167, v19, v167 row_newbcast:3 row_mask:0xf bank_mask:0xf// 000000005868: 0B4F4EFA FF015313
	v_mul_f32_dpp v168, v19, v168 row_newbcast:4 row_mask:0xf bank_mask:0xf// 000000005870: 0B5150FA FF015413
	v_mul_f32_dpp v169, v19, v169 row_newbcast:5 row_mask:0xf bank_mask:0xf// 000000005878: 0B5352FA FF015513
	v_mul_f32_dpp v170, v19, v170 row_newbcast:6 row_mask:0xf bank_mask:0xf// 000000005880: 0B5554FA FF015613
	v_mul_f32_dpp v171, v19, v171 row_newbcast:7 row_mask:0xf bank_mask:0xf// 000000005888: 0B5756FA FF015713
	v_mul_f32_dpp v172, v19, v172 row_newbcast:4 row_mask:0xf bank_mask:0xf// 000000005890: 0B5958FA FF015413
	v_mul_f32_dpp v173, v19, v173 row_newbcast:5 row_mask:0xf bank_mask:0xf// 000000005898: 0B5B5AFA FF015513
	v_mul_f32_dpp v174, v19, v174 row_newbcast:6 row_mask:0xf bank_mask:0xf// 0000000058A0: 0B5D5CFA FF015613
	v_mul_f32_dpp v175, v19, v175 row_newbcast:7 row_mask:0xf bank_mask:0xf// 0000000058A8: 0B5F5EFA FF015713
	v_lshlrev_b32_e32 v50, 2, v0                               // 0000000058B0: 24640082
	s_mul_i32 s60, s82, s71                                    // 0000000058B4: 923C4752
	v_add_u32_e64 v80, v50, s60                                // 0000000058B8: D1340050 00007932
	v_mov_b32_e32 v81, 0                                       // 0000000058C0: 7EA20280
	s_mul_i32 s60, s83, s71                                    // 0000000058C4: 923C4753
	v_add_u32_e64 v82, v50, s60                                // 0000000058C8: D1340052 00007932
	v_mov_b32_e32 v83, 0                                       // 0000000058D0: 7EA60280
	s_mul_i32 s60, s84, s71                                    // 0000000058D4: 923C4754
	v_add_u32_e64 v84, v50, s60                                // 0000000058D8: D1340054 00007932
	v_mov_b32_e32 v85, 0                                       // 0000000058E0: 7EAA0280
	s_mul_i32 s60, s85, s71                                    // 0000000058E4: 923C4755
	v_add_u32_e64 v86, v50, s60                                // 0000000058E8: D1340056 00007932
	v_mov_b32_e32 v87, 0                                       // 0000000058F0: 7EAE0280
	s_mul_i32 s60, s86, s71                                    // 0000000058F4: 923C4756
	v_add_u32_e64 v88, v50, s60                                // 0000000058F8: D1340058 00007932
	v_mov_b32_e32 v89, 0                                       // 000000005900: 7EB20280
	s_mul_i32 s60, s87, s71                                    // 000000005904: 923C4757
	v_add_u32_e64 v90, v50, s60                                // 000000005908: D134005A 00007932
	v_mov_b32_e32 v91, 0                                       // 000000005910: 7EB60280
	s_mul_i32 s60, s88, s71                                    // 000000005914: 923C4758
	v_add_u32_e64 v92, v50, s60                                // 000000005918: D134005C 00007932
	v_mov_b32_e32 v93, 0                                       // 000000005920: 7EBA0280
	s_mul_i32 s60, s89, s71                                    // 000000005924: 923C4759
	v_add_u32_e64 v94, v50, s60                                // 000000005928: D134005E 00007932
	v_mov_b32_e32 v95, 0                                       // 000000005930: 7EBE0280
	buffer_load_dword v12, v5, s[16:19], 0 offen               // 000000005934: E0501000 80040C05
	v_mov_b32_e32 v22, 0x358637bd                              // 00000000593C: 7E2C02FF 358637BD
	v_mov_b32_e32 v23, 0x358637bd                              // 000000005944: 7E2E02FF 358637BD
	v_max3_f32 v22, |v128|, |v129|, v22                        // 00000000594C: D1D30316 045B0380
	v_max3_f32 v22, |v130|, |v131|, v22                        // 000000005954: D1D30316 045B0782
	v_max3_f32 v23, |v132|, |v133|, v23                        // 00000000595C: D1D30317 045F0B84
	v_max3_f32 v23, |v134|, |v135|, v23                        // 000000005964: D1D30317 045F0F86
	v_max3_f32 v22, |v136|, |v137|, v22                        // 00000000596C: D1D30316 045B1388
	v_max3_f32 v22, |v138|, |v139|, v22                        // 000000005974: D1D30316 045B178A
	v_max3_f32 v23, |v140|, |v141|, v23                        // 00000000597C: D1D30317 045F1B8C
	v_max3_f32 v23, |v142|, |v143|, v23                        // 000000005984: D1D30317 045F1F8E
	v_max3_f32 v22, |v144|, |v145|, v22                        // 00000000598C: D1D30316 045B2390
	v_max3_f32 v22, |v146|, |v147|, v22                        // 000000005994: D1D30316 045B2792
	v_max3_f32 v23, |v148|, |v149|, v23                        // 00000000599C: D1D30317 045F2B94
	v_max3_f32 v23, |v150|, |v151|, v23                        // 0000000059A4: D1D30317 045F2F96
	v_max3_f32 v22, |v152|, |v153|, v22                        // 0000000059AC: D1D30316 045B3398
	v_max3_f32 v22, |v154|, |v155|, v22                        // 0000000059B4: D1D30316 045B379A
	v_max3_f32 v23, |v156|, |v157|, v23                        // 0000000059BC: D1D30317 045F3B9C
	v_max3_f32 v23, |v158|, |v159|, v23                        // 0000000059C4: D1D30317 045F3F9E
	v_max3_f32 v22, |v160|, |v161|, v22                        // 0000000059CC: D1D30316 045B43A0
	v_max3_f32 v22, |v162|, |v163|, v22                        // 0000000059D4: D1D30316 045B47A2
	v_max3_f32 v23, |v164|, |v165|, v23                        // 0000000059DC: D1D30317 045F4BA4
	v_max3_f32 v23, |v166|, |v167|, v23                        // 0000000059E4: D1D30317 045F4FA6
	v_max3_f32 v22, |v168|, |v169|, v22                        // 0000000059EC: D1D30316 045B53A8
	v_max3_f32 v22, |v170|, |v171|, v22                        // 0000000059F4: D1D30316 045B57AA
	v_max3_f32 v23, |v172|, |v173|, v23                        // 0000000059FC: D1D30317 045F5BAC
	v_max3_f32 v23, |v174|, |v175|, v23                        // 000000005A04: D1D30317 045F5FAE
	v_lshlrev_b32_e32 v50, 3, v0                               // 000000005A0C: 24640083
	s_mul_i32 s60, 0x200, s7                                   // 000000005A10: 923C07FF 00000200
	v_add_u32_e32 v50, s60, v50                                // 000000005A18: 6864643C
	ds_write_b64 v50, v[22:23] offset:16640                    // 000000005A1C: D89A4100 00001632
	s_waitcnt lgkmcnt(0)                                       // 000000005A24: BF8CC07F
	s_barrier                                                  // 000000005A28: BF8A0000
	v_and_b32_e32 v50, 15, v0                                  // 000000005A2C: 2664008F
	v_lshlrev_b32_e32 v50, 3, v50                              // 000000005A30: 24646483
	ds_read_b64 v[96:97], v50 offset:16640                     // 000000005A34: D8EC4100 60000032
	ds_read_b64 v[98:99], v50 offset:16768                     // 000000005A3C: D8EC4180 62000032
	ds_read_b64 v[100:101], v50 offset:16896                   // 000000005A44: D8EC4200 64000032
	ds_read_b64 v[102:103], v50 offset:17024                   // 000000005A4C: D8EC4280 66000032
	ds_read_b64 v[104:105], v50 offset:17152                   // 000000005A54: D8EC4300 68000032
	ds_read_b64 v[106:107], v50 offset:17280                   // 000000005A5C: D8EC4380 6A000032
	ds_read_b64 v[108:109], v50 offset:17408                   // 000000005A64: D8EC4400 6C000032
	ds_read_b64 v[110:111], v50 offset:17536                   // 000000005A6C: D8EC4480 6E000032
	ds_read_b64 v[112:113], v50 offset:17664                   // 000000005A74: D8EC4500 70000032
	ds_read_b64 v[114:115], v50 offset:17792                   // 000000005A7C: D8EC4580 72000032
	ds_read_b64 v[116:117], v50 offset:17920                   // 000000005A84: D8EC4600 74000032
	ds_read_b64 v[118:119], v50 offset:18048                   // 000000005A8C: D8EC4680 76000032
	ds_read_b64 v[120:121], v50 offset:18176                   // 000000005A94: D8EC4700 78000032
	ds_read_b64 v[122:123], v50 offset:18304                   // 000000005A9C: D8EC4780 7A000032
	ds_read_b64 v[124:125], v50 offset:18432                   // 000000005AA4: D8EC4800 7C000032
	ds_read_b64 v[126:127], v50 offset:18560                   // 000000005AAC: D8EC4880 7E000032
	s_waitcnt lgkmcnt(0)                                       // 000000005AB4: BF8CC07F
	v_max3_f32 v22, |v96|, |v98|, v22                          // 000000005AB8: D1D30316 045AC560
	v_max3_f32 v23, |v97|, |v99|, v23                          // 000000005AC0: D1D30317 045EC761
	v_max3_f32 v22, |v100|, |v102|, v22                        // 000000005AC8: D1D30316 045ACD64
	v_max3_f32 v23, |v101|, |v103|, v23                        // 000000005AD0: D1D30317 045ECF65
	v_max3_f32 v22, |v104|, |v106|, v22                        // 000000005AD8: D1D30316 045AD568
	v_max3_f32 v23, |v105|, |v107|, v23                        // 000000005AE0: D1D30317 045ED769
	v_max3_f32 v22, |v108|, |v110|, v22                        // 000000005AE8: D1D30316 045ADD6C
	v_max3_f32 v23, |v109|, |v111|, v23                        // 000000005AF0: D1D30317 045EDF6D
	v_max3_f32 v22, |v112|, |v114|, v22                        // 000000005AF8: D1D30316 045AE570
	v_max3_f32 v23, |v113|, |v115|, v23                        // 000000005B00: D1D30317 045EE771
	v_max3_f32 v22, |v116|, |v118|, v22                        // 000000005B08: D1D30316 045AED74
	v_max3_f32 v23, |v117|, |v119|, v23                        // 000000005B10: D1D30317 045EEF75
	v_max3_f32 v22, |v120|, |v122|, v22                        // 000000005B18: D1D30316 045AF578
	v_max3_f32 v23, |v121|, |v123|, v23                        // 000000005B20: D1D30317 045EF779
	v_max3_f32 v22, |v124|, |v126|, v22                        // 000000005B28: D1D30316 045AFD7C
	v_max3_f32 v23, |v125|, |v127|, v23                        // 000000005B30: D1D30317 045EFF7D
	v_rcp_f32_e32 v22, v22                                     // 000000005B38: 7E2C4516
	v_rcp_f32_e32 v23, v23                                     // 000000005B3C: 7E2E4517
	v_mul_f32_e32 v22, 0x42fe0000, v22                         // 000000005B40: 0A2C2CFF 42FE0000
	v_mul_f32_e32 v23, 0x42fe0000, v23                         // 000000005B48: 0A2E2EFF 42FE0000
	v_mul_f32_e32 v128, v22, v128                              // 000000005B50: 0B010116
	v_mul_f32_e32 v129, v22, v129                              // 000000005B54: 0B030316
	v_mul_f32_e32 v130, v22, v130                              // 000000005B58: 0B050516
	v_mul_f32_e32 v131, v22, v131                              // 000000005B5C: 0B070716
	v_cvt_i32_f32_e32 v128, v128                               // 000000005B60: 7F001180
	v_cvt_i32_f32_e32 v129, v129                               // 000000005B64: 7F021181
	v_cvt_i32_f32_e32 v130, v130                               // 000000005B68: 7F041182
	v_cvt_i32_f32_e32 v131, v131                               // 000000005B6C: 7F061183
	v_perm_b32 v128, v129, v128, s53                           // 000000005B70: D1ED0080 00D70181
	v_perm_b32 v128, v130, v128, s54                           // 000000005B78: D1ED0080 00DB0182
	v_perm_b32 v128, v131, v128, s55                           // 000000005B80: D1ED0080 00DF0183
	v_mul_f32_e32 v132, v23, v132                              // 000000005B88: 0B090917
	v_mul_f32_e32 v133, v23, v133                              // 000000005B8C: 0B0B0B17
	v_mul_f32_e32 v134, v23, v134                              // 000000005B90: 0B0D0D17
	v_mul_f32_e32 v135, v23, v135                              // 000000005B94: 0B0F0F17
	v_cvt_i32_f32_e32 v132, v132                               // 000000005B98: 7F081184
	v_cvt_i32_f32_e32 v133, v133                               // 000000005B9C: 7F0A1185
	v_cvt_i32_f32_e32 v134, v134                               // 000000005BA0: 7F0C1186
	v_cvt_i32_f32_e32 v135, v135                               // 000000005BA4: 7F0E1187
	v_perm_b32 v129, v133, v132, s53                           // 000000005BA8: D1ED0081 00D70985
	v_perm_b32 v129, v134, v129, s54                           // 000000005BB0: D1ED0081 00DB0386
	v_perm_b32 v129, v135, v129, s55                           // 000000005BB8: D1ED0081 00DF0387
	v_mul_f32_e32 v136, v22, v136                              // 000000005BC0: 0B111116
	v_mul_f32_e32 v137, v22, v137                              // 000000005BC4: 0B131316
	v_mul_f32_e32 v138, v22, v138                              // 000000005BC8: 0B151516
	v_mul_f32_e32 v139, v22, v139                              // 000000005BCC: 0B171716
	v_cvt_i32_f32_e32 v136, v136                               // 000000005BD0: 7F101188
	v_cvt_i32_f32_e32 v137, v137                               // 000000005BD4: 7F121189
	v_cvt_i32_f32_e32 v138, v138                               // 000000005BD8: 7F14118A
	v_cvt_i32_f32_e32 v139, v139                               // 000000005BDC: 7F16118B
	v_perm_b32 v130, v137, v136, s53                           // 000000005BE0: D1ED0082 00D71189
	v_perm_b32 v130, v138, v130, s54                           // 000000005BE8: D1ED0082 00DB058A
	v_perm_b32 v130, v139, v130, s55                           // 000000005BF0: D1ED0082 00DF058B
	v_mul_f32_e32 v140, v23, v140                              // 000000005BF8: 0B191917
	v_mul_f32_e32 v141, v23, v141                              // 000000005BFC: 0B1B1B17
	v_mul_f32_e32 v142, v23, v142                              // 000000005C00: 0B1D1D17
	v_mul_f32_e32 v143, v23, v143                              // 000000005C04: 0B1F1F17
	v_cvt_i32_f32_e32 v140, v140                               // 000000005C08: 7F18118C
	v_cvt_i32_f32_e32 v141, v141                               // 000000005C0C: 7F1A118D
	v_cvt_i32_f32_e32 v142, v142                               // 000000005C10: 7F1C118E
	v_cvt_i32_f32_e32 v143, v143                               // 000000005C14: 7F1E118F
	v_perm_b32 v131, v141, v140, s53                           // 000000005C18: D1ED0083 00D7198D
	v_perm_b32 v131, v142, v131, s54                           // 000000005C20: D1ED0083 00DB078E
	v_perm_b32 v131, v143, v131, s55                           // 000000005C28: D1ED0083 00DF078F
	v_mul_f32_e32 v144, v22, v144                              // 000000005C30: 0B212116
	v_mul_f32_e32 v145, v22, v145                              // 000000005C34: 0B232316
	v_mul_f32_e32 v146, v22, v146                              // 000000005C38: 0B252516
	v_mul_f32_e32 v147, v22, v147                              // 000000005C3C: 0B272716
	v_cvt_i32_f32_e32 v144, v144                               // 000000005C40: 7F201190
	v_cvt_i32_f32_e32 v145, v145                               // 000000005C44: 7F221191
	v_cvt_i32_f32_e32 v146, v146                               // 000000005C48: 7F241192
	v_cvt_i32_f32_e32 v147, v147                               // 000000005C4C: 7F261193
	v_perm_b32 v132, v145, v144, s53                           // 000000005C50: D1ED0084 00D72191
	v_perm_b32 v132, v146, v132, s54                           // 000000005C58: D1ED0084 00DB0992
	v_perm_b32 v132, v147, v132, s55                           // 000000005C60: D1ED0084 00DF0993
	v_mul_f32_e32 v148, v23, v148                              // 000000005C68: 0B292917
	v_mul_f32_e32 v149, v23, v149                              // 000000005C6C: 0B2B2B17
	v_mul_f32_e32 v150, v23, v150                              // 000000005C70: 0B2D2D17
	v_mul_f32_e32 v151, v23, v151                              // 000000005C74: 0B2F2F17
	v_cvt_i32_f32_e32 v148, v148                               // 000000005C78: 7F281194
	v_cvt_i32_f32_e32 v149, v149                               // 000000005C7C: 7F2A1195
	v_cvt_i32_f32_e32 v150, v150                               // 000000005C80: 7F2C1196
	v_cvt_i32_f32_e32 v151, v151                               // 000000005C84: 7F2E1197
	v_perm_b32 v133, v149, v148, s53                           // 000000005C88: D1ED0085 00D72995
	v_perm_b32 v133, v150, v133, s54                           // 000000005C90: D1ED0085 00DB0B96
	v_perm_b32 v133, v151, v133, s55                           // 000000005C98: D1ED0085 00DF0B97
	v_mul_f32_e32 v152, v22, v152                              // 000000005CA0: 0B313116
	v_mul_f32_e32 v153, v22, v153                              // 000000005CA4: 0B333316
	v_mul_f32_e32 v154, v22, v154                              // 000000005CA8: 0B353516
	v_mul_f32_e32 v155, v22, v155                              // 000000005CAC: 0B373716
	v_cvt_i32_f32_e32 v152, v152                               // 000000005CB0: 7F301198
	v_cvt_i32_f32_e32 v153, v153                               // 000000005CB4: 7F321199
	v_cvt_i32_f32_e32 v154, v154                               // 000000005CB8: 7F34119A
	v_cvt_i32_f32_e32 v155, v155                               // 000000005CBC: 7F36119B
	v_perm_b32 v134, v153, v152, s53                           // 000000005CC0: D1ED0086 00D73199
	v_perm_b32 v134, v154, v134, s54                           // 000000005CC8: D1ED0086 00DB0D9A
	v_perm_b32 v134, v155, v134, s55                           // 000000005CD0: D1ED0086 00DF0D9B
	v_mul_f32_e32 v156, v23, v156                              // 000000005CD8: 0B393917
	v_mul_f32_e32 v157, v23, v157                              // 000000005CDC: 0B3B3B17
	v_mul_f32_e32 v158, v23, v158                              // 000000005CE0: 0B3D3D17
	v_mul_f32_e32 v159, v23, v159                              // 000000005CE4: 0B3F3F17
	v_cvt_i32_f32_e32 v156, v156                               // 000000005CE8: 7F38119C
	v_cvt_i32_f32_e32 v157, v157                               // 000000005CEC: 7F3A119D
	v_cvt_i32_f32_e32 v158, v158                               // 000000005CF0: 7F3C119E
	v_cvt_i32_f32_e32 v159, v159                               // 000000005CF4: 7F3E119F
	v_perm_b32 v135, v157, v156, s53                           // 000000005CF8: D1ED0087 00D7399D
	v_perm_b32 v135, v158, v135, s54                           // 000000005D00: D1ED0087 00DB0F9E
	v_perm_b32 v135, v159, v135, s55                           // 000000005D08: D1ED0087 00DF0F9F
	v_mul_f32_e32 v160, v22, v160                              // 000000005D10: 0B414116
	v_mul_f32_e32 v161, v22, v161                              // 000000005D14: 0B434316
	v_mul_f32_e32 v162, v22, v162                              // 000000005D18: 0B454516
	v_mul_f32_e32 v163, v22, v163                              // 000000005D1C: 0B474716
	v_cvt_i32_f32_e32 v160, v160                               // 000000005D20: 7F4011A0
	v_cvt_i32_f32_e32 v161, v161                               // 000000005D24: 7F4211A1
	v_cvt_i32_f32_e32 v162, v162                               // 000000005D28: 7F4411A2
	v_cvt_i32_f32_e32 v163, v163                               // 000000005D2C: 7F4611A3
	v_perm_b32 v136, v161, v160, s53                           // 000000005D30: D1ED0088 00D741A1
	v_perm_b32 v136, v162, v136, s54                           // 000000005D38: D1ED0088 00DB11A2
	v_perm_b32 v136, v163, v136, s55                           // 000000005D40: D1ED0088 00DF11A3
	v_mul_f32_e32 v164, v23, v164                              // 000000005D48: 0B494917
	v_mul_f32_e32 v165, v23, v165                              // 000000005D4C: 0B4B4B17
	v_mul_f32_e32 v166, v23, v166                              // 000000005D50: 0B4D4D17
	v_mul_f32_e32 v167, v23, v167                              // 000000005D54: 0B4F4F17
	v_cvt_i32_f32_e32 v164, v164                               // 000000005D58: 7F4811A4
	v_cvt_i32_f32_e32 v165, v165                               // 000000005D5C: 7F4A11A5
	v_cvt_i32_f32_e32 v166, v166                               // 000000005D60: 7F4C11A6
	v_cvt_i32_f32_e32 v167, v167                               // 000000005D64: 7F4E11A7
	v_perm_b32 v137, v165, v164, s53                           // 000000005D68: D1ED0089 00D749A5
	v_perm_b32 v137, v166, v137, s54                           // 000000005D70: D1ED0089 00DB13A6
	v_perm_b32 v137, v167, v137, s55                           // 000000005D78: D1ED0089 00DF13A7
	v_mul_f32_e32 v168, v22, v168                              // 000000005D80: 0B515116
	v_mul_f32_e32 v169, v22, v169                              // 000000005D84: 0B535316
	v_mul_f32_e32 v170, v22, v170                              // 000000005D88: 0B555516
	v_mul_f32_e32 v171, v22, v171                              // 000000005D8C: 0B575716
	v_cvt_i32_f32_e32 v168, v168                               // 000000005D90: 7F5011A8
	v_cvt_i32_f32_e32 v169, v169                               // 000000005D94: 7F5211A9
	v_cvt_i32_f32_e32 v170, v170                               // 000000005D98: 7F5411AA
	v_cvt_i32_f32_e32 v171, v171                               // 000000005D9C: 7F5611AB
	v_perm_b32 v138, v169, v168, s53                           // 000000005DA0: D1ED008A 00D751A9
	v_perm_b32 v138, v170, v138, s54                           // 000000005DA8: D1ED008A 00DB15AA
	v_perm_b32 v138, v171, v138, s55                           // 000000005DB0: D1ED008A 00DF15AB
	v_mul_f32_e32 v172, v23, v172                              // 000000005DB8: 0B595917
	v_mul_f32_e32 v173, v23, v173                              // 000000005DBC: 0B5B5B17
	v_mul_f32_e32 v174, v23, v174                              // 000000005DC0: 0B5D5D17
	v_mul_f32_e32 v175, v23, v175                              // 000000005DC4: 0B5F5F17
	v_cvt_i32_f32_e32 v172, v172                               // 000000005DC8: 7F5811AC
	v_cvt_i32_f32_e32 v173, v173                               // 000000005DCC: 7F5A11AD
	v_cvt_i32_f32_e32 v174, v174                               // 000000005DD0: 7F5C11AE
	v_cvt_i32_f32_e32 v175, v175                               // 000000005DD4: 7F5E11AF
	v_perm_b32 v139, v173, v172, s53                           // 000000005DD8: D1ED008B 00D759AD
	v_perm_b32 v139, v174, v139, s54                           // 000000005DE0: D1ED008B 00DB17AE
	v_perm_b32 v139, v175, v139, s55                           // 000000005DE8: D1ED008B 00DF17AF
	v_rcp_f32_e32 v24, v22                                     // 000000005DF0: 7E304516
	v_rcp_f32_e32 v25, v23                                     // 000000005DF4: 7E324517
	v_lshrrev_b32_e32 v50, 5, v0                               // 000000005DF8: 20640085
	v_lshlrev_b32_e32 v51, 5, v50                              // 000000005DFC: 24666485
	v_and_b32_e32 v50, 31, v0                                  // 000000005E00: 2664009F
	v_lshrrev_b32_e32 v52, 4, v50                              // 000000005E04: 20686484
	v_add_u32_e32 v51, v52, v51                                // 000000005E08: 68666734
	v_and_b32_e32 v50, 15, v0                                  // 000000005E0C: 2664008F
	v_lshlrev_b32_e32 v50, 1, v50                              // 000000005E10: 24646481
	v_add_u32_e32 v51, v50, v51                                // 000000005E14: 68666732
	v_lshlrev_b32_e32 v50, 2, v51                              // 000000005E18: 24646682
	s_mul_i32 s60, 0x100, s7                                   // 000000005E1C: 923C07FF 00000100
	v_add_u32_e64 v50, v50, s60                                // 000000005E24: D1340032 00007932
	ds_write_b32 v50, v128 offset:18688                        // 000000005E2C: D81A4900 00008032
	ds_write_b32 v50, v129 offset:24832                        // 000000005E34: D81A6100 00008132
	ds_write_b32 v50, v130 offset:19712                        // 000000005E3C: D81A4D00 00008232
	ds_write_b32 v50, v131 offset:25856                        // 000000005E44: D81A6500 00008332
	ds_write_b32 v50, v132 offset:20736                        // 000000005E4C: D81A5100 00008432
	ds_write_b32 v50, v133 offset:26880                        // 000000005E54: D81A6900 00008532
	ds_write_b32 v50, v134 offset:21760                        // 000000005E5C: D81A5500 00008632
	ds_write_b32 v50, v135 offset:27904                        // 000000005E64: D81A6D00 00008732
	ds_write_b32 v50, v136 offset:22784                        // 000000005E6C: D81A5900 00008832
	ds_write_b32 v50, v137 offset:28928                        // 000000005E74: D81A7100 00008932
	ds_write_b32 v50, v138 offset:23808                        // 000000005E7C: D81A5D00 00008A32
	ds_write_b32 v50, v139 offset:29952                        // 000000005E84: D81A7500 00008B32
	s_waitcnt lgkmcnt(0)                                       // 000000005E8C: BF8CC07F
	s_barrier                                                  // 000000005E90: BF8A0000
	v_lshrrev_b32_e32 v50, 4, v0                               // 000000005E94: 20640084
	v_lshlrev_b32_e32 v51, 6, v50                              // 000000005E98: 24666486
	v_and_b32_e32 v50, 15, v0                                  // 000000005E9C: 2664008F
	v_lshlrev_b32_e32 v50, 1, v50                              // 000000005EA0: 24646481
	v_add_u32_e32 v51, v50, v51                                // 000000005EA4: 68666732
	v_lshlrev_b32_e32 v50, 2, v51                              // 000000005EA8: 24646682
	ds_read_b64 v[128:129], v50 offset:18688                   // 000000005EAC: D8EC4900 80000032
	ds_read_b64 v[130:131], v50 offset:18816                   // 000000005EB4: D8EC4980 82000032
	ds_read_b64 v[132:133], v50 offset:19712                   // 000000005EBC: D8EC4D00 84000032
	ds_read_b64 v[134:135], v50 offset:19840                   // 000000005EC4: D8EC4D80 86000032
	ds_read_b64 v[136:137], v50 offset:20736                   // 000000005ECC: D8EC5100 88000032
	ds_read_b64 v[138:139], v50 offset:20864                   // 000000005ED4: D8EC5180 8A000032
	ds_read_b64 v[140:141], v50 offset:21760                   // 000000005EDC: D8EC5500 8C000032
	ds_read_b64 v[142:143], v50 offset:21888                   // 000000005EE4: D8EC5580 8E000032
	ds_read_b64 v[144:145], v50 offset:22784                   // 000000005EEC: D8EC5900 90000032
	ds_read_b64 v[146:147], v50 offset:22912                   // 000000005EF4: D8EC5980 92000032
	ds_read_b64 v[148:149], v50 offset:23808                   // 000000005EFC: D8EC5D00 94000032
	ds_read_b64 v[150:151], v50 offset:23936                   // 000000005F04: D8EC5D80 96000032
	ds_read_b64 v[152:153], v50 offset:24832                   // 000000005F0C: D8EC6100 98000032
	ds_read_b64 v[154:155], v50 offset:24960                   // 000000005F14: D8EC6180 9A000032
	ds_read_b64 v[156:157], v50 offset:25856                   // 000000005F1C: D8EC6500 9C000032
	ds_read_b64 v[158:159], v50 offset:25984                   // 000000005F24: D8EC6580 9E000032
	ds_read_b64 v[160:161], v50 offset:26880                   // 000000005F2C: D8EC6900 A0000032
	ds_read_b64 v[162:163], v50 offset:27008                   // 000000005F34: D8EC6980 A2000032
	ds_read_b64 v[164:165], v50 offset:27904                   // 000000005F3C: D8EC6D00 A4000032
	ds_read_b64 v[166:167], v50 offset:28032                   // 000000005F44: D8EC6D80 A6000032
	ds_read_b64 v[168:169], v50 offset:28928                   // 000000005F4C: D8EC7100 A8000032
	ds_read_b64 v[170:171], v50 offset:29056                   // 000000005F54: D8EC7180 AA000032
	ds_read_b64 v[172:173], v50 offset:29952                   // 000000005F5C: D8EC7500 AC000032
	ds_read_b64 v[174:175], v50 offset:30080                   // 000000005F64: D8EC7580 AE000032
	s_add_u32 s12, s56, s12                                    // 000000005F6C: 800C0C38
	s_addc_u32 s13, 0, s13                                     // 000000005F70: 820D0D80
	s_add_u32 s16, s79, s16                                    // 000000005F74: 8010104F
	s_addc_u32 s17, 0, s17                                     // 000000005F78: 82111180
	s_mov_b32 s80, 0                                           // 000000005F7C: BED00080
	s_waitcnt vmcnt(0) expcnt(0) lgkmcnt(0)                    // 000000005F80: BF8C0000

0000000000005f84 <label_0C61>:
	s_waitcnt vmcnt(37)                                        // 000000005F84: BF8C8F75
	s_barrier                                                  // 000000005F88: BF8A0000
	v_mfma_i32_16x16x32_i8 v[176:179], a[0:1], v[128:129], 0   // 000000005F8C: D3D700B0 0A030100
	v_mfma_i32_16x16x32_i8 v[176:179], a[2:3], v[130:131], v[176:179]// 000000005F94: D3D700B0 0EC30502
	buffer_load_dwordx4 a[96:99], v40, s[12:15], 0 offen       // 000000005F9C: E05C1000 80836028
	v_mfma_i32_16x16x32_i8 v[180:183], a[0:1], v[152:153], 0   // 000000005FA4: D3D700B4 0A033100
	v_mfma_i32_16x16x32_i8 v[180:183], a[2:3], v[154:155], v[180:183]// 000000005FAC: D3D700B4 0ED33502
	v_mfma_i32_16x16x32_i8 v[184:187], a[4:5], v[128:129], 0   // 000000005FB4: D3D700B8 0A030104
	v_mfma_i32_16x16x32_i8 v[184:187], a[6:7], v[130:131], v[184:187]// 000000005FBC: D3D700B8 0EE30506
	buffer_load_dwordx4 a[100:103], v41, s[12:15], 0 offen     // 000000005FC4: E05C1000 80836429
	v_mfma_i32_16x16x32_i8 v[188:191], a[4:5], v[152:153], 0   // 000000005FCC: D3D700BC 0A033104
	v_mfma_i32_16x16x32_i8 v[188:191], a[6:7], v[154:155], v[188:191]// 000000005FD4: D3D700BC 0EF33506
	v_mfma_i32_16x16x32_i8 v[192:195], a[8:9], v[128:129], 0   // 000000005FDC: D3D700C0 0A030108
	v_mfma_i32_16x16x32_i8 v[192:195], a[10:11], v[130:131], v[192:195]// 000000005FE4: D3D700C0 0F03050A
	buffer_load_dwordx4 a[104:107], v42, s[12:15], 0 offen     // 000000005FEC: E05C1000 8083682A
	v_mfma_i32_16x16x32_i8 v[196:199], a[8:9], v[152:153], 0   // 000000005FF4: D3D700C4 0A033108
	v_mfma_i32_16x16x32_i8 v[196:199], a[10:11], v[154:155], v[196:199]// 000000005FFC: D3D700C4 0F13350A
	v_mfma_i32_16x16x32_i8 v[200:203], a[12:13], v[128:129], 0 // 000000006004: D3D700C8 0A03010C
	v_mfma_i32_16x16x32_i8 v[200:203], a[14:15], v[130:131], v[200:203]// 00000000600C: D3D700C8 0F23050E
	buffer_load_dwordx4 a[108:111], v43, s[12:15], 0 offen     // 000000006014: E05C1000 80836C2B
	s_add_u32 s12, s78, s12                                    // 00000000601C: 800C0C4E
	s_addc_u32 s13, 0, s13                                     // 000000006020: 820D0D80
	v_mfma_i32_16x16x32_i8 v[204:207], a[12:13], v[152:153], 0 // 000000006024: D3D700CC 0A03310C
	v_mfma_i32_16x16x32_i8 v[204:207], a[14:15], v[154:155], v[204:207]// 00000000602C: D3D700CC 0F33350E
	s_waitcnt vmcnt(37)                                        // 000000006034: BF8C8F75
	v_mfma_i32_16x16x32_i8 v[176:179], a[16:17], v[132:133], v[176:179]// 000000006038: D3D700B0 0EC30910
	v_mfma_i32_16x16x32_i8 v[176:179], a[18:19], v[134:135], v[176:179]// 000000006040: D3D700B0 0EC30D12
	buffer_load_dwordx4 a[112:115], v40, s[12:15], 0 offen     // 000000006048: E05C1000 80837028
	v_mfma_i32_16x16x32_i8 v[180:183], a[16:17], v[156:157], v[180:183]// 000000006050: D3D700B4 0ED33910
	v_mfma_i32_16x16x32_i8 v[180:183], a[18:19], v[158:159], v[180:183]// 000000006058: D3D700B4 0ED33D12
	v_mfma_i32_16x16x32_i8 v[184:187], a[20:21], v[132:133], v[184:187]// 000000006060: D3D700B8 0EE30914
	v_mfma_i32_16x16x32_i8 v[184:187], a[22:23], v[134:135], v[184:187]// 000000006068: D3D700B8 0EE30D16
	buffer_load_dwordx4 a[116:119], v41, s[12:15], 0 offen     // 000000006070: E05C1000 80837429
	v_mfma_i32_16x16x32_i8 v[188:191], a[20:21], v[156:157], v[188:191]// 000000006078: D3D700BC 0EF33914
	v_mfma_i32_16x16x32_i8 v[188:191], a[22:23], v[158:159], v[188:191]// 000000006080: D3D700BC 0EF33D16
	v_mfma_i32_16x16x32_i8 v[192:195], a[24:25], v[132:133], v[192:195]// 000000006088: D3D700C0 0F030918
	v_mfma_i32_16x16x32_i8 v[192:195], a[26:27], v[134:135], v[192:195]// 000000006090: D3D700C0 0F030D1A
	buffer_load_dwordx4 a[120:123], v42, s[12:15], 0 offen     // 000000006098: E05C1000 8083782A
	v_mfma_i32_16x16x32_i8 v[196:199], a[24:25], v[156:157], v[196:199]// 0000000060A0: D3D700C4 0F133918
	v_mfma_i32_16x16x32_i8 v[196:199], a[26:27], v[158:159], v[196:199]// 0000000060A8: D3D700C4 0F133D1A
	v_mfma_i32_16x16x32_i8 v[200:203], a[28:29], v[132:133], v[200:203]// 0000000060B0: D3D700C8 0F23091C
	v_mfma_i32_16x16x32_i8 v[200:203], a[30:31], v[134:135], v[200:203]// 0000000060B8: D3D700C8 0F230D1E
	buffer_load_dwordx4 a[124:127], v43, s[12:15], 0 offen     // 0000000060C0: E05C1000 80837C2B
	s_add_u32 s12, s78, s12                                    // 0000000060C8: 800C0C4E
	s_addc_u32 s13, 0, s13                                     // 0000000060CC: 820D0D80
	v_mfma_i32_16x16x32_i8 v[204:207], a[28:29], v[156:157], v[204:207]// 0000000060D0: D3D700CC 0F33391C
	v_mfma_i32_16x16x32_i8 v[204:207], a[30:31], v[158:159], v[204:207]// 0000000060D8: D3D700CC 0F333D1E
	s_waitcnt vmcnt(37)                                        // 0000000060E0: BF8C8F75
	v_mfma_i32_16x16x32_i8 v[176:179], a[32:33], v[136:137], v[176:179]// 0000000060E4: D3D700B0 0EC31120
	v_mfma_i32_16x16x32_i8 v[176:179], a[34:35], v[138:139], v[176:179]// 0000000060EC: D3D700B0 0EC31522
	buffer_load_dwordx4 a[128:131], v40, s[12:15], 0 offen     // 0000000060F4: E05C1000 80838028
	v_mfma_i32_16x16x32_i8 v[180:183], a[32:33], v[160:161], v[180:183]// 0000000060FC: D3D700B4 0ED34120
	v_mfma_i32_16x16x32_i8 v[180:183], a[34:35], v[162:163], v[180:183]// 000000006104: D3D700B4 0ED34522
	v_mfma_i32_16x16x32_i8 v[184:187], a[36:37], v[136:137], v[184:187]// 00000000610C: D3D700B8 0EE31124
	v_mfma_i32_16x16x32_i8 v[184:187], a[38:39], v[138:139], v[184:187]// 000000006114: D3D700B8 0EE31526
	buffer_load_dwordx4 a[132:135], v41, s[12:15], 0 offen     // 00000000611C: E05C1000 80838429
	v_mfma_i32_16x16x32_i8 v[188:191], a[36:37], v[160:161], v[188:191]// 000000006124: D3D700BC 0EF34124
	v_mfma_i32_16x16x32_i8 v[188:191], a[38:39], v[162:163], v[188:191]// 00000000612C: D3D700BC 0EF34526
	v_mfma_i32_16x16x32_i8 v[192:195], a[40:41], v[136:137], v[192:195]// 000000006134: D3D700C0 0F031128
	v_mfma_i32_16x16x32_i8 v[192:195], a[42:43], v[138:139], v[192:195]// 00000000613C: D3D700C0 0F03152A
	buffer_load_dwordx4 a[136:139], v42, s[12:15], 0 offen     // 000000006144: E05C1000 8083882A
	v_mfma_i32_16x16x32_i8 v[196:199], a[40:41], v[160:161], v[196:199]// 00000000614C: D3D700C4 0F134128
	v_mfma_i32_16x16x32_i8 v[196:199], a[42:43], v[162:163], v[196:199]// 000000006154: D3D700C4 0F13452A
	v_mfma_i32_16x16x32_i8 v[200:203], a[44:45], v[136:137], v[200:203]// 00000000615C: D3D700C8 0F23112C
	v_mfma_i32_16x16x32_i8 v[200:203], a[46:47], v[138:139], v[200:203]// 000000006164: D3D700C8 0F23152E
	buffer_load_dwordx4 a[140:143], v43, s[12:15], 0 offen     // 00000000616C: E05C1000 80838C2B
	s_add_u32 s12, s78, s12                                    // 000000006174: 800C0C4E
	s_addc_u32 s13, 0, s13                                     // 000000006178: 820D0D80
	v_mfma_i32_16x16x32_i8 v[204:207], a[44:45], v[160:161], v[204:207]// 00000000617C: D3D700CC 0F33412C
	v_mfma_i32_16x16x32_i8 v[204:207], a[46:47], v[162:163], v[204:207]// 000000006184: D3D700CC 0F33452E
	s_waitcnt vmcnt(37)                                        // 00000000618C: BF8C8F75
	v_mfma_i32_16x16x32_i8 v[176:179], a[48:49], v[140:141], v[176:179]// 000000006190: D3D700B0 0EC31930
	v_mfma_i32_16x16x32_i8 v[176:179], a[50:51], v[142:143], v[176:179]// 000000006198: D3D700B0 0EC31D32
	buffer_load_dwordx4 a[144:147], v40, s[12:15], 0 offen     // 0000000061A0: E05C1000 80839028
	v_mfma_i32_16x16x32_i8 v[180:183], a[48:49], v[164:165], v[180:183]// 0000000061A8: D3D700B4 0ED34930
	v_mfma_i32_16x16x32_i8 v[180:183], a[50:51], v[166:167], v[180:183]// 0000000061B0: D3D700B4 0ED34D32
	v_mfma_i32_16x16x32_i8 v[184:187], a[52:53], v[140:141], v[184:187]// 0000000061B8: D3D700B8 0EE31934
	v_mfma_i32_16x16x32_i8 v[184:187], a[54:55], v[142:143], v[184:187]// 0000000061C0: D3D700B8 0EE31D36
	buffer_load_dwordx4 a[148:151], v41, s[12:15], 0 offen     // 0000000061C8: E05C1000 80839429
	v_mfma_i32_16x16x32_i8 v[188:191], a[52:53], v[164:165], v[188:191]// 0000000061D0: D3D700BC 0EF34934
	v_mfma_i32_16x16x32_i8 v[188:191], a[54:55], v[166:167], v[188:191]// 0000000061D8: D3D700BC 0EF34D36
	v_mfma_i32_16x16x32_i8 v[192:195], a[56:57], v[140:141], v[192:195]// 0000000061E0: D3D700C0 0F031938
	v_mfma_i32_16x16x32_i8 v[192:195], a[58:59], v[142:143], v[192:195]// 0000000061E8: D3D700C0 0F031D3A
	buffer_load_dwordx4 a[152:155], v42, s[12:15], 0 offen     // 0000000061F0: E05C1000 8083982A
	v_mfma_i32_16x16x32_i8 v[196:199], a[56:57], v[164:165], v[196:199]// 0000000061F8: D3D700C4 0F134938
	v_mfma_i32_16x16x32_i8 v[196:199], a[58:59], v[166:167], v[196:199]// 000000006200: D3D700C4 0F134D3A
	v_mfma_i32_16x16x32_i8 v[200:203], a[60:61], v[140:141], v[200:203]// 000000006208: D3D700C8 0F23193C
	v_mfma_i32_16x16x32_i8 v[200:203], a[62:63], v[142:143], v[200:203]// 000000006210: D3D700C8 0F231D3E
	buffer_load_dwordx4 a[156:159], v43, s[12:15], 0 offen     // 000000006218: E05C1000 80839C2B
	s_add_u32 s12, s78, s12                                    // 000000006220: 800C0C4E
	s_addc_u32 s13, 0, s13                                     // 000000006224: 820D0D80
	v_mfma_i32_16x16x32_i8 v[204:207], a[60:61], v[164:165], v[204:207]// 000000006228: D3D700CC 0F33493C
	v_mfma_i32_16x16x32_i8 v[204:207], a[62:63], v[166:167], v[204:207]// 000000006230: D3D700CC 0F334D3E
	s_waitcnt vmcnt(37)                                        // 000000006238: BF8C8F75
	v_mfma_i32_16x16x32_i8 v[176:179], a[64:65], v[144:145], v[176:179]// 00000000623C: D3D700B0 0EC32140
	v_mfma_i32_16x16x32_i8 v[176:179], a[66:67], v[146:147], v[176:179]// 000000006244: D3D700B0 0EC32542
	buffer_load_dwordx4 a[160:163], v40, s[12:15], 0 offen     // 00000000624C: E05C1000 8083A028
	v_mfma_i32_16x16x32_i8 v[180:183], a[64:65], v[168:169], v[180:183]// 000000006254: D3D700B4 0ED35140
	v_mfma_i32_16x16x32_i8 v[180:183], a[66:67], v[170:171], v[180:183]// 00000000625C: D3D700B4 0ED35542
	v_mfma_i32_16x16x32_i8 v[184:187], a[68:69], v[144:145], v[184:187]// 000000006264: D3D700B8 0EE32144
	v_mfma_i32_16x16x32_i8 v[184:187], a[70:71], v[146:147], v[184:187]// 00000000626C: D3D700B8 0EE32546
	buffer_load_dwordx4 a[164:167], v41, s[12:15], 0 offen     // 000000006274: E05C1000 8083A429
	v_mfma_i32_16x16x32_i8 v[188:191], a[68:69], v[168:169], v[188:191]// 00000000627C: D3D700BC 0EF35144
	v_mfma_i32_16x16x32_i8 v[188:191], a[70:71], v[170:171], v[188:191]// 000000006284: D3D700BC 0EF35546
	v_mfma_i32_16x16x32_i8 v[192:195], a[72:73], v[144:145], v[192:195]// 00000000628C: D3D700C0 0F032148
	v_mfma_i32_16x16x32_i8 v[192:195], a[74:75], v[146:147], v[192:195]// 000000006294: D3D700C0 0F03254A
	buffer_load_dwordx4 a[168:171], v42, s[12:15], 0 offen     // 00000000629C: E05C1000 8083A82A
	v_mfma_i32_16x16x32_i8 v[196:199], a[72:73], v[168:169], v[196:199]// 0000000062A4: D3D700C4 0F135148
	v_mfma_i32_16x16x32_i8 v[196:199], a[74:75], v[170:171], v[196:199]// 0000000062AC: D3D700C4 0F13554A
	v_mfma_i32_16x16x32_i8 v[200:203], a[76:77], v[144:145], v[200:203]// 0000000062B4: D3D700C8 0F23214C
	v_mfma_i32_16x16x32_i8 v[200:203], a[78:79], v[146:147], v[200:203]// 0000000062BC: D3D700C8 0F23254E
	buffer_load_dwordx4 a[172:175], v43, s[12:15], 0 offen     // 0000000062C4: E05C1000 8083AC2B
	s_add_u32 s12, s78, s12                                    // 0000000062CC: 800C0C4E
	s_addc_u32 s13, 0, s13                                     // 0000000062D0: 820D0D80
	v_mfma_i32_16x16x32_i8 v[204:207], a[76:77], v[168:169], v[204:207]// 0000000062D4: D3D700CC 0F33514C
	v_mfma_i32_16x16x32_i8 v[204:207], a[78:79], v[170:171], v[204:207]// 0000000062DC: D3D700CC 0F33554E
	s_waitcnt vmcnt(36)                                        // 0000000062E4: BF8C8F74
	v_mfma_i32_16x16x32_i8 v[176:179], a[80:81], v[148:149], v[176:179]// 0000000062E8: D3D700B0 0EC32950
	v_mfma_i32_16x16x32_i8 v[176:179], a[82:83], v[150:151], v[176:179]// 0000000062F0: D3D700B0 0EC32D52
	buffer_load_dwordx4 a[176:179], v40, s[12:15], 0 offen     // 0000000062F8: E05C1000 8083B028
	v_mfma_i32_16x16x32_i8 v[180:183], a[80:81], v[172:173], v[180:183]// 000000006300: D3D700B4 0ED35950
	v_mfma_i32_16x16x32_i8 v[180:183], a[82:83], v[174:175], v[180:183]// 000000006308: D3D700B4 0ED35D52
	buffer_load_dword v13, v5, s[16:19], 0 offen               // 000000006310: E0501000 80040D05
	v_mfma_i32_16x16x32_i8 v[184:187], a[84:85], v[148:149], v[184:187]// 000000006318: D3D700B8 0EE32954
	v_mfma_i32_16x16x32_i8 v[184:187], a[86:87], v[150:151], v[184:187]// 000000006320: D3D700B8 0EE32D56
	buffer_load_dwordx4 a[180:183], v41, s[12:15], 0 offen     // 000000006328: E05C1000 8083B429
	v_mfma_i32_16x16x32_i8 v[188:191], a[84:85], v[172:173], v[188:191]// 000000006330: D3D700BC 0EF35954
	v_mfma_i32_16x16x32_i8 v[188:191], a[86:87], v[174:175], v[188:191]// 000000006338: D3D700BC 0EF35D56
	v_mfma_i32_16x16x32_i8 v[192:195], a[88:89], v[148:149], v[192:195]// 000000006340: D3D700C0 0F032958
	v_mfma_i32_16x16x32_i8 v[192:195], a[90:91], v[150:151], v[192:195]// 000000006348: D3D700C0 0F032D5A
	buffer_load_dwordx4 a[184:187], v42, s[12:15], 0 offen     // 000000006350: E05C1000 8083B82A
	v_mfma_i32_16x16x32_i8 v[196:199], a[88:89], v[172:173], v[196:199]// 000000006358: D3D700C4 0F135958
	v_mfma_i32_16x16x32_i8 v[196:199], a[90:91], v[174:175], v[196:199]// 000000006360: D3D700C4 0F135D5A
	v_mfma_i32_16x16x32_i8 v[200:203], a[92:93], v[148:149], v[200:203]// 000000006368: D3D700C8 0F23295C
	v_mfma_i32_16x16x32_i8 v[200:203], a[94:95], v[150:151], v[200:203]// 000000006370: D3D700C8 0F232D5E
	buffer_load_dwordx4 a[188:191], v43, s[12:15], 0 offen     // 000000006378: E05C1000 8083BC2B
	v_mfma_i32_16x16x32_i8 v[204:207], a[92:93], v[172:173], v[204:207]// 000000006380: D3D700CC 0F33595C
	v_mfma_i32_16x16x32_i8 v[204:207], a[94:95], v[174:175], v[204:207]// 000000006388: D3D700CC 0F335D5E
	s_add_u32 s60, 0x200, s80                                  // 000000006390: 803C50FF 00000200
	s_cmp_lt_u32 s60, s81                                      // 000000006398: BF0A513C
	s_cselect_b32 s56, s56, 0                                  // 00000000639C: 85388038
	s_cselect_b32 s78, s78, 0                                  // 0000000063A0: 854E804E
	s_cselect_b32 s79, s79, 0                                  // 0000000063A4: 854F804F
	s_add_u32 s12, s56, s12                                    // 0000000063A8: 800C0C38
	s_addc_u32 s13, 0, s13                                     // 0000000063AC: 820D0D80
	s_add_u32 s16, s79, s16                                    // 0000000063B0: 8010104F
	s_addc_u32 s17, 0, s17                                     // 0000000063B4: 82111180
	v_cvt_f32_i32_e32 v176, v176                               // 0000000063B8: 7F600BB0
	v_cvt_f32_i32_e32 v177, v177                               // 0000000063BC: 7F620BB1
	v_cvt_f32_i32_e32 v178, v178                               // 0000000063C0: 7F640BB2
	v_cvt_f32_i32_e32 v179, v179                               // 0000000063C4: 7F660BB3
	v_mul_f32_e32 v176, v24, v176                              // 0000000063C8: 0B616118
	v_mul_f32_e32 v177, v24, v177                              // 0000000063CC: 0B636318
	v_mul_f32_e32 v178, v24, v178                              // 0000000063D0: 0B656518
	v_mul_f32_e32 v179, v24, v179                              // 0000000063D4: 0B676718
	v_mul_f32_dpp v176, v12, v176 row_newbcast:0 row_mask:0xf bank_mask:0xf// 0000000063D8: 0B6160FA FF01500C
	v_mul_f32_dpp v177, v12, v177 row_newbcast:1 row_mask:0xf bank_mask:0xf// 0000000063E0: 0B6362FA FF01510C
	v_mul_f32_dpp v178, v12, v178 row_newbcast:2 row_mask:0xf bank_mask:0xf// 0000000063E8: 0B6564FA FF01520C
	v_mul_f32_dpp v179, v12, v179 row_newbcast:3 row_mask:0xf bank_mask:0xf// 0000000063F0: 0B6766FA FF01530C
	v_mul_f32_e32 v176, v20, v176                              // 0000000063F8: 0B616114
	v_mul_f32_e32 v177, v20, v177                              // 0000000063FC: 0B636314
	v_mul_f32_e32 v178, v20, v178                              // 000000006400: 0B656514
	v_mul_f32_e32 v179, v20, v179                              // 000000006404: 0B676714
	v_cvt_f32_i32_e32 v180, v180                               // 000000006408: 7F680BB4
	v_cvt_f32_i32_e32 v181, v181                               // 00000000640C: 7F6A0BB5
	v_cvt_f32_i32_e32 v182, v182                               // 000000006410: 7F6C0BB6
	v_cvt_f32_i32_e32 v183, v183                               // 000000006414: 7F6E0BB7
	v_mul_f32_e32 v180, v25, v180                              // 000000006418: 0B696919
	v_mul_f32_e32 v181, v25, v181                              // 00000000641C: 0B6B6B19
	v_mul_f32_e32 v182, v25, v182                              // 000000006420: 0B6D6D19
	v_mul_f32_e32 v183, v25, v183                              // 000000006424: 0B6F6F19
	v_mul_f32_dpp v180, v12, v180 row_newbcast:0 row_mask:0xf bank_mask:0xf// 000000006428: 0B6968FA FF01500C
	v_mul_f32_dpp v181, v12, v181 row_newbcast:1 row_mask:0xf bank_mask:0xf// 000000006430: 0B6B6AFA FF01510C
	v_mul_f32_dpp v182, v12, v182 row_newbcast:2 row_mask:0xf bank_mask:0xf// 000000006438: 0B6D6CFA FF01520C
	v_mul_f32_dpp v183, v12, v183 row_newbcast:3 row_mask:0xf bank_mask:0xf// 000000006440: 0B6F6EFA FF01530C
	v_mul_f32_e32 v180, v21, v180                              // 000000006448: 0B696915
	v_mul_f32_e32 v181, v21, v181                              // 00000000644C: 0B6B6B15
	v_mul_f32_e32 v182, v21, v182                              // 000000006450: 0B6D6D15
	v_mul_f32_e32 v183, v21, v183                              // 000000006454: 0B6F6F15
	v_cvt_f32_i32_e32 v184, v184                               // 000000006458: 7F700BB8
	v_cvt_f32_i32_e32 v185, v185                               // 00000000645C: 7F720BB9
	v_cvt_f32_i32_e32 v186, v186                               // 000000006460: 7F740BBA
	v_cvt_f32_i32_e32 v187, v187                               // 000000006464: 7F760BBB
	v_mul_f32_e32 v184, v24, v184                              // 000000006468: 0B717118
	v_mul_f32_e32 v185, v24, v185                              // 00000000646C: 0B737318
	v_mul_f32_e32 v186, v24, v186                              // 000000006470: 0B757518
	v_mul_f32_e32 v187, v24, v187                              // 000000006474: 0B777718
	v_mul_f32_dpp v184, v12, v184 row_newbcast:4 row_mask:0xf bank_mask:0xf// 000000006478: 0B7170FA FF01540C
	v_mul_f32_dpp v185, v12, v185 row_newbcast:5 row_mask:0xf bank_mask:0xf// 000000006480: 0B7372FA FF01550C
	v_mul_f32_dpp v186, v12, v186 row_newbcast:6 row_mask:0xf bank_mask:0xf// 000000006488: 0B7574FA FF01560C
	v_mul_f32_dpp v187, v12, v187 row_newbcast:7 row_mask:0xf bank_mask:0xf// 000000006490: 0B7776FA FF01570C
	v_mul_f32_e32 v184, v20, v184                              // 000000006498: 0B717114
	v_mul_f32_e32 v185, v20, v185                              // 00000000649C: 0B737314
	v_mul_f32_e32 v186, v20, v186                              // 0000000064A0: 0B757514
	v_mul_f32_e32 v187, v20, v187                              // 0000000064A4: 0B777714
	v_cvt_f32_i32_e32 v188, v188                               // 0000000064A8: 7F780BBC
	v_cvt_f32_i32_e32 v189, v189                               // 0000000064AC: 7F7A0BBD
	v_cvt_f32_i32_e32 v190, v190                               // 0000000064B0: 7F7C0BBE
	v_cvt_f32_i32_e32 v191, v191                               // 0000000064B4: 7F7E0BBF
	v_mul_f32_e32 v188, v25, v188                              // 0000000064B8: 0B797919
	v_mul_f32_e32 v189, v25, v189                              // 0000000064BC: 0B7B7B19
	v_mul_f32_e32 v190, v25, v190                              // 0000000064C0: 0B7D7D19
	v_mul_f32_e32 v191, v25, v191                              // 0000000064C4: 0B7F7F19
	v_mul_f32_dpp v188, v12, v188 row_newbcast:4 row_mask:0xf bank_mask:0xf// 0000000064C8: 0B7978FA FF01540C
	v_mul_f32_dpp v189, v12, v189 row_newbcast:5 row_mask:0xf bank_mask:0xf// 0000000064D0: 0B7B7AFA FF01550C
	v_mul_f32_dpp v190, v12, v190 row_newbcast:6 row_mask:0xf bank_mask:0xf// 0000000064D8: 0B7D7CFA FF01560C
	v_mul_f32_dpp v191, v12, v191 row_newbcast:7 row_mask:0xf bank_mask:0xf// 0000000064E0: 0B7F7EFA FF01570C
	v_mul_f32_e32 v188, v21, v188                              // 0000000064E8: 0B797915
	v_mul_f32_e32 v189, v21, v189                              // 0000000064EC: 0B7B7B15
	v_mul_f32_e32 v190, v21, v190                              // 0000000064F0: 0B7D7D15
	v_mul_f32_e32 v191, v21, v191                              // 0000000064F4: 0B7F7F15
	v_cvt_f32_i32_e32 v192, v192                               // 0000000064F8: 7F800BC0
	v_cvt_f32_i32_e32 v193, v193                               // 0000000064FC: 7F820BC1
	v_cvt_f32_i32_e32 v194, v194                               // 000000006500: 7F840BC2
	v_cvt_f32_i32_e32 v195, v195                               // 000000006504: 7F860BC3
	v_mul_f32_e32 v192, v24, v192                              // 000000006508: 0B818118
	v_mul_f32_e32 v193, v24, v193                              // 00000000650C: 0B838318
	v_mul_f32_e32 v194, v24, v194                              // 000000006510: 0B858518
	v_mul_f32_e32 v195, v24, v195                              // 000000006514: 0B878718
	v_mul_f32_dpp v192, v12, v192 row_newbcast:8 row_mask:0xf bank_mask:0xf// 000000006518: 0B8180FA FF01580C
	v_mul_f32_dpp v193, v12, v193 row_newbcast:9 row_mask:0xf bank_mask:0xf// 000000006520: 0B8382FA FF01590C
	v_mul_f32_dpp v194, v12, v194 row_newbcast:10 row_mask:0xf bank_mask:0xf// 000000006528: 0B8584FA FF015A0C
	v_mul_f32_dpp v195, v12, v195 row_newbcast:11 row_mask:0xf bank_mask:0xf// 000000006530: 0B8786FA FF015B0C
	v_mul_f32_e32 v192, v20, v192                              // 000000006538: 0B818114
	v_mul_f32_e32 v193, v20, v193                              // 00000000653C: 0B838314
	v_mul_f32_e32 v194, v20, v194                              // 000000006540: 0B858514
	v_mul_f32_e32 v195, v20, v195                              // 000000006544: 0B878714
	v_cvt_f32_i32_e32 v196, v196                               // 000000006548: 7F880BC4
	v_cvt_f32_i32_e32 v197, v197                               // 00000000654C: 7F8A0BC5
	v_cvt_f32_i32_e32 v198, v198                               // 000000006550: 7F8C0BC6
	v_cvt_f32_i32_e32 v199, v199                               // 000000006554: 7F8E0BC7
	v_mul_f32_e32 v196, v25, v196                              // 000000006558: 0B898919
	v_mul_f32_e32 v197, v25, v197                              // 00000000655C: 0B8B8B19
	v_mul_f32_e32 v198, v25, v198                              // 000000006560: 0B8D8D19
	v_mul_f32_e32 v199, v25, v199                              // 000000006564: 0B8F8F19
	v_mul_f32_dpp v196, v12, v196 row_newbcast:8 row_mask:0xf bank_mask:0xf// 000000006568: 0B8988FA FF01580C
	v_mul_f32_dpp v197, v12, v197 row_newbcast:9 row_mask:0xf bank_mask:0xf// 000000006570: 0B8B8AFA FF01590C
	v_mul_f32_dpp v198, v12, v198 row_newbcast:10 row_mask:0xf bank_mask:0xf// 000000006578: 0B8D8CFA FF015A0C
	v_mul_f32_dpp v199, v12, v199 row_newbcast:11 row_mask:0xf bank_mask:0xf// 000000006580: 0B8F8EFA FF015B0C
	v_mul_f32_e32 v196, v21, v196                              // 000000006588: 0B898915
	v_mul_f32_e32 v197, v21, v197                              // 00000000658C: 0B8B8B15
	v_mul_f32_e32 v198, v21, v198                              // 000000006590: 0B8D8D15
	v_mul_f32_e32 v199, v21, v199                              // 000000006594: 0B8F8F15
	v_cvt_f32_i32_e32 v200, v200                               // 000000006598: 7F900BC8
	v_cvt_f32_i32_e32 v201, v201                               // 00000000659C: 7F920BC9
	v_cvt_f32_i32_e32 v202, v202                               // 0000000065A0: 7F940BCA
	v_cvt_f32_i32_e32 v203, v203                               // 0000000065A4: 7F960BCB
	v_mul_f32_e32 v200, v24, v200                              // 0000000065A8: 0B919118
	v_mul_f32_e32 v201, v24, v201                              // 0000000065AC: 0B939318
	v_mul_f32_e32 v202, v24, v202                              // 0000000065B0: 0B959518
	v_mul_f32_e32 v203, v24, v203                              // 0000000065B4: 0B979718
	v_mul_f32_dpp v200, v12, v200 row_newbcast:12 row_mask:0xf bank_mask:0xf// 0000000065B8: 0B9190FA FF015C0C
	v_mul_f32_dpp v201, v12, v201 row_newbcast:13 row_mask:0xf bank_mask:0xf// 0000000065C0: 0B9392FA FF015D0C
	v_mul_f32_dpp v202, v12, v202 row_newbcast:14 row_mask:0xf bank_mask:0xf// 0000000065C8: 0B9594FA FF015E0C
	v_mul_f32_dpp v203, v12, v203 row_newbcast:15 row_mask:0xf bank_mask:0xf// 0000000065D0: 0B9796FA FF015F0C
	v_mul_f32_e32 v200, v20, v200                              // 0000000065D8: 0B919114
	v_mul_f32_e32 v201, v20, v201                              // 0000000065DC: 0B939314
	v_mul_f32_e32 v202, v20, v202                              // 0000000065E0: 0B959514
	v_mul_f32_e32 v203, v20, v203                              // 0000000065E4: 0B979714
	v_cvt_f32_i32_e32 v204, v204                               // 0000000065E8: 7F980BCC
	v_cvt_f32_i32_e32 v205, v205                               // 0000000065EC: 7F9A0BCD
	v_cvt_f32_i32_e32 v206, v206                               // 0000000065F0: 7F9C0BCE
	v_cvt_f32_i32_e32 v207, v207                               // 0000000065F4: 7F9E0BCF
	v_mul_f32_e32 v204, v25, v204                              // 0000000065F8: 0B999919
	v_mul_f32_e32 v205, v25, v205                              // 0000000065FC: 0B9B9B19
	v_mul_f32_e32 v206, v25, v206                              // 000000006600: 0B9D9D19
	v_mul_f32_e32 v207, v25, v207                              // 000000006604: 0B9F9F19
	v_mul_f32_dpp v204, v12, v204 row_newbcast:12 row_mask:0xf bank_mask:0xf// 000000006608: 0B9998FA FF015C0C
	v_mul_f32_dpp v205, v12, v205 row_newbcast:13 row_mask:0xf bank_mask:0xf// 000000006610: 0B9B9AFA FF015D0C
	v_mul_f32_dpp v206, v12, v206 row_newbcast:14 row_mask:0xf bank_mask:0xf// 000000006618: 0B9D9CFA FF015E0C
	v_mul_f32_dpp v207, v12, v207 row_newbcast:15 row_mask:0xf bank_mask:0xf// 000000006620: 0B9F9EFA FF015F0C
	v_mul_f32_e32 v204, v21, v204                              // 000000006628: 0B999915
	v_mul_f32_e32 v205, v21, v205                              // 00000000662C: 0B9B9B15
	v_mul_f32_e32 v206, v21, v206                              // 000000006630: 0B9D9D15
	v_mul_f32_e32 v207, v21, v207                              // 000000006634: 0B9F9F15
	v_cmp_u_f32_e64 s[48:49], v176, v176                       // 000000006638: D0480030 000361B0
	v_add3_u32 v44, v176, v47, 1                               // 000000006640: D1FF002C 02065FB0
	v_cndmask_b32_e64 v50, v44, v46, s[48:49]                  // 000000006648: D1000032 00C25D2C
	v_cmp_u_f32_e64 s[48:49], v177, v177                       // 000000006650: D0480030 000363B1
	v_add3_u32 v44, v177, v47, 1                               // 000000006658: D1FF002C 02065FB1
	v_cndmask_b32_e64 v51, v44, v46, s[48:49]                  // 000000006660: D1000033 00C25D2C
	v_perm_b32 v176, v51, v50, s52                             // 000000006668: D1ED00B0 00D26533
	v_cmp_u_f32_e64 s[48:49], v178, v178                       // 000000006670: D0480030 000365B2
	v_add3_u32 v44, v178, v47, 1                               // 000000006678: D1FF002C 02065FB2
	v_cndmask_b32_e64 v50, v44, v46, s[48:49]                  // 000000006680: D1000032 00C25D2C
	v_cmp_u_f32_e64 s[48:49], v179, v179                       // 000000006688: D0480030 000367B3
	v_add3_u32 v44, v179, v47, 1                               // 000000006690: D1FF002C 02065FB3
	v_cndmask_b32_e64 v51, v44, v46, s[48:49]                  // 000000006698: D1000033 00C25D2C
	v_perm_b32 v177, v51, v50, s52                             // 0000000066A0: D1ED00B1 00D26533
	v_cmp_u_f32_e64 s[48:49], v180, v180                       // 0000000066A8: D0480030 000369B4
	v_add3_u32 v44, v180, v47, 1                               // 0000000066B0: D1FF002C 02065FB4
	v_cndmask_b32_e64 v50, v44, v46, s[48:49]                  // 0000000066B8: D1000032 00C25D2C
	v_cmp_u_f32_e64 s[48:49], v181, v181                       // 0000000066C0: D0480030 00036BB5
	v_add3_u32 v44, v181, v47, 1                               // 0000000066C8: D1FF002C 02065FB5
	v_cndmask_b32_e64 v51, v44, v46, s[48:49]                  // 0000000066D0: D1000033 00C25D2C
	v_perm_b32 v178, v51, v50, s52                             // 0000000066D8: D1ED00B2 00D26533
	v_cmp_u_f32_e64 s[48:49], v182, v182                       // 0000000066E0: D0480030 00036DB6
	v_add3_u32 v44, v182, v47, 1                               // 0000000066E8: D1FF002C 02065FB6
	v_cndmask_b32_e64 v50, v44, v46, s[48:49]                  // 0000000066F0: D1000032 00C25D2C
	v_cmp_u_f32_e64 s[48:49], v183, v183                       // 0000000066F8: D0480030 00036FB7
	v_add3_u32 v44, v183, v47, 1                               // 000000006700: D1FF002C 02065FB7
	v_cndmask_b32_e64 v51, v44, v46, s[48:49]                  // 000000006708: D1000033 00C25D2C
	v_perm_b32 v179, v51, v50, s52                             // 000000006710: D1ED00B3 00D26533
	v_cmp_u_f32_e64 s[48:49], v184, v184                       // 000000006718: D0480030 000371B8
	v_add3_u32 v44, v184, v47, 1                               // 000000006720: D1FF002C 02065FB8
	v_cndmask_b32_e64 v50, v44, v46, s[48:49]                  // 000000006728: D1000032 00C25D2C
	v_cmp_u_f32_e64 s[48:49], v185, v185                       // 000000006730: D0480030 000373B9
	v_add3_u32 v44, v185, v47, 1                               // 000000006738: D1FF002C 02065FB9
	v_cndmask_b32_e64 v51, v44, v46, s[48:49]                  // 000000006740: D1000033 00C25D2C
	v_perm_b32 v180, v51, v50, s52                             // 000000006748: D1ED00B4 00D26533
	v_cmp_u_f32_e64 s[48:49], v186, v186                       // 000000006750: D0480030 000375BA
	v_add3_u32 v44, v186, v47, 1                               // 000000006758: D1FF002C 02065FBA
	v_cndmask_b32_e64 v50, v44, v46, s[48:49]                  // 000000006760: D1000032 00C25D2C
	v_cmp_u_f32_e64 s[48:49], v187, v187                       // 000000006768: D0480030 000377BB
	v_add3_u32 v44, v187, v47, 1                               // 000000006770: D1FF002C 02065FBB
	v_cndmask_b32_e64 v51, v44, v46, s[48:49]                  // 000000006778: D1000033 00C25D2C
	v_perm_b32 v181, v51, v50, s52                             // 000000006780: D1ED00B5 00D26533
	v_cmp_u_f32_e64 s[48:49], v188, v188                       // 000000006788: D0480030 000379BC
	v_add3_u32 v44, v188, v47, 1                               // 000000006790: D1FF002C 02065FBC
	v_cndmask_b32_e64 v50, v44, v46, s[48:49]                  // 000000006798: D1000032 00C25D2C
	v_cmp_u_f32_e64 s[48:49], v189, v189                       // 0000000067A0: D0480030 00037BBD
	v_add3_u32 v44, v189, v47, 1                               // 0000000067A8: D1FF002C 02065FBD
	v_cndmask_b32_e64 v51, v44, v46, s[48:49]                  // 0000000067B0: D1000033 00C25D2C
	v_perm_b32 v182, v51, v50, s52                             // 0000000067B8: D1ED00B6 00D26533
	v_cmp_u_f32_e64 s[48:49], v190, v190                       // 0000000067C0: D0480030 00037DBE
	v_add3_u32 v44, v190, v47, 1                               // 0000000067C8: D1FF002C 02065FBE
	v_cndmask_b32_e64 v50, v44, v46, s[48:49]                  // 0000000067D0: D1000032 00C25D2C
	v_cmp_u_f32_e64 s[48:49], v191, v191                       // 0000000067D8: D0480030 00037FBF
	v_add3_u32 v44, v191, v47, 1                               // 0000000067E0: D1FF002C 02065FBF
	v_cndmask_b32_e64 v51, v44, v46, s[48:49]                  // 0000000067E8: D1000033 00C25D2C
	v_perm_b32 v183, v51, v50, s52                             // 0000000067F0: D1ED00B7 00D26533
	v_cmp_u_f32_e64 s[48:49], v192, v192                       // 0000000067F8: D0480030 000381C0
	v_add3_u32 v44, v192, v47, 1                               // 000000006800: D1FF002C 02065FC0
	v_cndmask_b32_e64 v50, v44, v46, s[48:49]                  // 000000006808: D1000032 00C25D2C
	v_cmp_u_f32_e64 s[48:49], v193, v193                       // 000000006810: D0480030 000383C1
	v_add3_u32 v44, v193, v47, 1                               // 000000006818: D1FF002C 02065FC1
	v_cndmask_b32_e64 v51, v44, v46, s[48:49]                  // 000000006820: D1000033 00C25D2C
	v_perm_b32 v184, v51, v50, s52                             // 000000006828: D1ED00B8 00D26533
	v_cmp_u_f32_e64 s[48:49], v194, v194                       // 000000006830: D0480030 000385C2
	v_add3_u32 v44, v194, v47, 1                               // 000000006838: D1FF002C 02065FC2
	v_cndmask_b32_e64 v50, v44, v46, s[48:49]                  // 000000006840: D1000032 00C25D2C
	v_cmp_u_f32_e64 s[48:49], v195, v195                       // 000000006848: D0480030 000387C3
	v_add3_u32 v44, v195, v47, 1                               // 000000006850: D1FF002C 02065FC3
	v_cndmask_b32_e64 v51, v44, v46, s[48:49]                  // 000000006858: D1000033 00C25D2C
	v_perm_b32 v185, v51, v50, s52                             // 000000006860: D1ED00B9 00D26533
	v_cmp_u_f32_e64 s[48:49], v196, v196                       // 000000006868: D0480030 000389C4
	v_add3_u32 v44, v196, v47, 1                               // 000000006870: D1FF002C 02065FC4
	v_cndmask_b32_e64 v50, v44, v46, s[48:49]                  // 000000006878: D1000032 00C25D2C
	v_cmp_u_f32_e64 s[48:49], v197, v197                       // 000000006880: D0480030 00038BC5
	v_add3_u32 v44, v197, v47, 1                               // 000000006888: D1FF002C 02065FC5
	v_cndmask_b32_e64 v51, v44, v46, s[48:49]                  // 000000006890: D1000033 00C25D2C
	v_perm_b32 v186, v51, v50, s52                             // 000000006898: D1ED00BA 00D26533
	v_cmp_u_f32_e64 s[48:49], v198, v198                       // 0000000068A0: D0480030 00038DC6
	v_add3_u32 v44, v198, v47, 1                               // 0000000068A8: D1FF002C 02065FC6
	v_cndmask_b32_e64 v50, v44, v46, s[48:49]                  // 0000000068B0: D1000032 00C25D2C
	v_cmp_u_f32_e64 s[48:49], v199, v199                       // 0000000068B8: D0480030 00038FC7
	v_add3_u32 v44, v199, v47, 1                               // 0000000068C0: D1FF002C 02065FC7
	v_cndmask_b32_e64 v51, v44, v46, s[48:49]                  // 0000000068C8: D1000033 00C25D2C
	v_perm_b32 v187, v51, v50, s52                             // 0000000068D0: D1ED00BB 00D26533
	v_cmp_u_f32_e64 s[48:49], v200, v200                       // 0000000068D8: D0480030 000391C8
	v_add3_u32 v44, v200, v47, 1                               // 0000000068E0: D1FF002C 02065FC8
	v_cndmask_b32_e64 v50, v44, v46, s[48:49]                  // 0000000068E8: D1000032 00C25D2C
	v_cmp_u_f32_e64 s[48:49], v201, v201                       // 0000000068F0: D0480030 000393C9
	v_add3_u32 v44, v201, v47, 1                               // 0000000068F8: D1FF002C 02065FC9
	v_cndmask_b32_e64 v51, v44, v46, s[48:49]                  // 000000006900: D1000033 00C25D2C
	v_perm_b32 v188, v51, v50, s52                             // 000000006908: D1ED00BC 00D26533
	v_cmp_u_f32_e64 s[48:49], v202, v202                       // 000000006910: D0480030 000395CA
	v_add3_u32 v44, v202, v47, 1                               // 000000006918: D1FF002C 02065FCA
	v_cndmask_b32_e64 v50, v44, v46, s[48:49]                  // 000000006920: D1000032 00C25D2C
	v_cmp_u_f32_e64 s[48:49], v203, v203                       // 000000006928: D0480030 000397CB
	v_add3_u32 v44, v203, v47, 1                               // 000000006930: D1FF002C 02065FCB
	v_cndmask_b32_e64 v51, v44, v46, s[48:49]                  // 000000006938: D1000033 00C25D2C
	v_perm_b32 v189, v51, v50, s52                             // 000000006940: D1ED00BD 00D26533
	v_cmp_u_f32_e64 s[48:49], v204, v204                       // 000000006948: D0480030 000399CC
	v_add3_u32 v44, v204, v47, 1                               // 000000006950: D1FF002C 02065FCC
	v_cndmask_b32_e64 v50, v44, v46, s[48:49]                  // 000000006958: D1000032 00C25D2C
	v_cmp_u_f32_e64 s[48:49], v205, v205                       // 000000006960: D0480030 00039BCD
	v_add3_u32 v44, v205, v47, 1                               // 000000006968: D1FF002C 02065FCD
	v_cndmask_b32_e64 v51, v44, v46, s[48:49]                  // 000000006970: D1000033 00C25D2C
	v_perm_b32 v190, v51, v50, s52                             // 000000006978: D1ED00BE 00D26533
	v_cmp_u_f32_e64 s[48:49], v206, v206                       // 000000006980: D0480030 00039DCE
	v_add3_u32 v44, v206, v47, 1                               // 000000006988: D1FF002C 02065FCE
	v_cndmask_b32_e64 v50, v44, v46, s[48:49]                  // 000000006990: D1000032 00C25D2C
	v_cmp_u_f32_e64 s[48:49], v207, v207                       // 000000006998: D0480030 00039FCF
	v_add3_u32 v44, v207, v47, 1                               // 0000000069A0: D1FF002C 02065FCF
	v_cndmask_b32_e64 v51, v44, v46, s[48:49]                  // 0000000069A8: D1000033 00C25D2C
	v_perm_b32 v191, v51, v50, s52                             // 0000000069B0: D1ED00BF 00D26533
	ds_write_b64 v3, v[176:177] offset:30976                   // 0000000069B8: D89A7900 0000B003
	ds_write_b64 v3, v[178:179] offset:39680                   // 0000000069C0: D89A9B00 0000B203
	ds_write_b64 v3, v[180:181] offset:33152                   // 0000000069C8: D89A8180 0000B403
	ds_write_b64 v3, v[182:183] offset:41856                   // 0000000069D0: D89AA380 0000B603
	ds_write_b64 v3, v[184:185] offset:35328                   // 0000000069D8: D89A8A00 0000B803
	ds_write_b64 v3, v[186:187] offset:44032                   // 0000000069E0: D89AAC00 0000BA03
	ds_write_b64 v3, v[188:189] offset:37504                   // 0000000069E8: D89A9280 0000BC03
	ds_write_b64 v3, v[190:191] offset:46208                   // 0000000069F0: D89AB480 0000BE03
	s_waitcnt lgkmcnt(0)                                       // 0000000069F8: BF8CC07F
	s_barrier                                                  // 0000000069FC: BF8A0000
	ds_read_b32 v64, v4 offset:30976                           // 000000006A00: D86C7900 40000004
	ds_read_b32 v65, v4 offset:35328                           // 000000006A08: D86C8A00 41000004
	ds_read_b32 v66, v4 offset:31008                           // 000000006A10: D86C7920 42000004
	ds_read_b32 v67, v4 offset:35360                           // 000000006A18: D86C8A20 43000004
	ds_read_b32 v68, v4 offset:31040                           // 000000006A20: D86C7940 44000004
	ds_read_b32 v69, v4 offset:35392                           // 000000006A28: D86C8A40 45000004
	ds_read_b32 v70, v4 offset:31072                           // 000000006A30: D86C7960 46000004
	ds_read_b32 v71, v4 offset:35424                           // 000000006A38: D86C8A60 47000004
	ds_read_b32 v72, v4 offset:39680                           // 000000006A40: D86C9B00 48000004
	ds_read_b32 v73, v4 offset:44032                           // 000000006A48: D86CAC00 49000004
	ds_read_b32 v74, v4 offset:39712                           // 000000006A50: D86C9B20 4A000004
	ds_read_b32 v75, v4 offset:44064                           // 000000006A58: D86CAC20 4B000004
	ds_read_b32 v76, v4 offset:39744                           // 000000006A60: D86C9B40 4C000004
	ds_read_b32 v77, v4 offset:44096                           // 000000006A68: D86CAC40 4D000004
	ds_read_b32 v78, v4 offset:39776                           // 000000006A70: D86C9B60 4E000004
	ds_read_b32 v79, v4 offset:44128                           // 000000006A78: D86CAC60 4F000004
	s_waitcnt lgkmcnt(0)                                       // 000000006A80: BF8CC07F
	s_mov_b64 exec, s[20:21]                                   // 000000006A84: BEFE0114
	global_atomic_pk_add_f16 v80, v64, s[8:9]                  // 000000006A88: DD388000 00084050
	s_mov_b64 exec, s[36:37]                                   // 000000006A90: BEFE0124
	s_mov_b64 exec, s[20:21]                                   // 000000006A94: BEFE0114
	global_atomic_pk_add_f16 v80, v65, s[8:9] offset:256       // 000000006A98: DD388100 00084150
	s_mov_b64 exec, s[36:37]                                   // 000000006AA0: BEFE0124
	s_mov_b64 exec, s[22:23]                                   // 000000006AA4: BEFE0116
	global_atomic_pk_add_f16 v82, v66, s[8:9]                  // 000000006AA8: DD388000 00084252
	s_mov_b64 exec, s[36:37]                                   // 000000006AB0: BEFE0124
	s_mov_b64 exec, s[22:23]                                   // 000000006AB4: BEFE0116
	global_atomic_pk_add_f16 v82, v67, s[8:9] offset:256       // 000000006AB8: DD388100 00084352
	s_mov_b64 exec, s[36:37]                                   // 000000006AC0: BEFE0124
	s_mov_b64 exec, s[24:25]                                   // 000000006AC4: BEFE0118
	global_atomic_pk_add_f16 v84, v68, s[8:9]                  // 000000006AC8: DD388000 00084454
	s_mov_b64 exec, s[36:37]                                   // 000000006AD0: BEFE0124
	s_mov_b64 exec, s[24:25]                                   // 000000006AD4: BEFE0118
	global_atomic_pk_add_f16 v84, v69, s[8:9] offset:256       // 000000006AD8: DD388100 00084554
	s_mov_b64 exec, s[36:37]                                   // 000000006AE0: BEFE0124
	s_mov_b64 exec, s[26:27]                                   // 000000006AE4: BEFE011A
	global_atomic_pk_add_f16 v86, v70, s[8:9]                  // 000000006AE8: DD388000 00084656
	s_mov_b64 exec, s[36:37]                                   // 000000006AF0: BEFE0124
	s_mov_b64 exec, s[26:27]                                   // 000000006AF4: BEFE011A
	global_atomic_pk_add_f16 v86, v71, s[8:9] offset:256       // 000000006AF8: DD388100 00084756
	s_mov_b64 exec, s[36:37]                                   // 000000006B00: BEFE0124
	s_mov_b64 exec, s[28:29]                                   // 000000006B04: BEFE011C
	global_atomic_pk_add_f16 v88, v72, s[8:9]                  // 000000006B08: DD388000 00084858
	s_mov_b64 exec, s[36:37]                                   // 000000006B10: BEFE0124
	s_mov_b64 exec, s[28:29]                                   // 000000006B14: BEFE011C
	global_atomic_pk_add_f16 v88, v73, s[8:9] offset:256       // 000000006B18: DD388100 00084958
	s_mov_b64 exec, s[36:37]                                   // 000000006B20: BEFE0124
	s_mov_b64 exec, s[30:31]                                   // 000000006B24: BEFE011E
	global_atomic_pk_add_f16 v90, v74, s[8:9]                  // 000000006B28: DD388000 00084A5A
	s_mov_b64 exec, s[36:37]                                   // 000000006B30: BEFE0124
	s_mov_b64 exec, s[30:31]                                   // 000000006B34: BEFE011E
	global_atomic_pk_add_f16 v90, v75, s[8:9] offset:256       // 000000006B38: DD388100 00084B5A
	s_mov_b64 exec, s[36:37]                                   // 000000006B40: BEFE0124
	s_mov_b64 exec, s[32:33]                                   // 000000006B44: BEFE0120
	global_atomic_pk_add_f16 v92, v76, s[8:9]                  // 000000006B48: DD388000 00084C5C
	s_mov_b64 exec, s[36:37]                                   // 000000006B50: BEFE0124
	s_mov_b64 exec, s[32:33]                                   // 000000006B54: BEFE0120
	global_atomic_pk_add_f16 v92, v77, s[8:9] offset:256       // 000000006B58: DD388100 00084D5C
	s_mov_b64 exec, s[36:37]                                   // 000000006B60: BEFE0124
	s_mov_b64 exec, s[34:35]                                   // 000000006B64: BEFE0122
	global_atomic_pk_add_f16 v94, v78, s[8:9]                  // 000000006B68: DD388000 00084E5E
	s_mov_b64 exec, s[36:37]                                   // 000000006B70: BEFE0124
	s_mov_b64 exec, s[34:35]                                   // 000000006B74: BEFE0122
	global_atomic_pk_add_f16 v94, v79, s[8:9] offset:256       // 000000006B78: DD388100 00084F5E
	s_mov_b64 exec, s[36:37]                                   // 000000006B80: BEFE0124
	s_add_u32 s8, s59, s8                                      // 000000006B84: 8008083B
	s_addc_u32 s9, 0, s9                                       // 000000006B88: 82090980
	s_addk_i32 s80, 0x100                                      // 000000006B8C: B7500100
	s_cmp_lt_i32 s80, s81                                      // 000000006B90: BF045150
	s_cbranch_scc0 label_126C                                  // 000000006B94: BF840306
	s_waitcnt vmcnt(37)                                        // 000000006B98: BF8C8F75
	s_barrier                                                  // 000000006B9C: BF8A0000
	v_mfma_i32_16x16x32_i8 v[208:211], a[96:97], v[128:129], 0 // 000000006BA0: D3D700D0 0A030160
	v_mfma_i32_16x16x32_i8 v[208:211], a[98:99], v[130:131], v[208:211]// 000000006BA8: D3D700D0 0F430562
	buffer_load_dwordx4 a[0:3], v40, s[12:15], 0 offen         // 000000006BB0: E05C1000 80830028
	v_mfma_i32_16x16x32_i8 v[212:215], a[96:97], v[152:153], 0 // 000000006BB8: D3D700D4 0A033160
	v_mfma_i32_16x16x32_i8 v[212:215], a[98:99], v[154:155], v[212:215]// 000000006BC0: D3D700D4 0F533562
	v_mfma_i32_16x16x32_i8 v[216:219], a[100:101], v[128:129], 0// 000000006BC8: D3D700D8 0A030164
	v_mfma_i32_16x16x32_i8 v[216:219], a[102:103], v[130:131], v[216:219]// 000000006BD0: D3D700D8 0F630566
	buffer_load_dwordx4 a[4:7], v41, s[12:15], 0 offen         // 000000006BD8: E05C1000 80830429
	v_mfma_i32_16x16x32_i8 v[220:223], a[100:101], v[152:153], 0// 000000006BE0: D3D700DC 0A033164
	v_mfma_i32_16x16x32_i8 v[220:223], a[102:103], v[154:155], v[220:223]// 000000006BE8: D3D700DC 0F733566
	v_mfma_i32_16x16x32_i8 v[224:227], a[104:105], v[128:129], 0// 000000006BF0: D3D700E0 0A030168
	v_mfma_i32_16x16x32_i8 v[224:227], a[106:107], v[130:131], v[224:227]// 000000006BF8: D3D700E0 0F83056A
	buffer_load_dwordx4 a[8:11], v42, s[12:15], 0 offen        // 000000006C00: E05C1000 8083082A
	v_mfma_i32_16x16x32_i8 v[228:231], a[104:105], v[152:153], 0// 000000006C08: D3D700E4 0A033168
	v_mfma_i32_16x16x32_i8 v[228:231], a[106:107], v[154:155], v[228:231]// 000000006C10: D3D700E4 0F93356A
	v_mfma_i32_16x16x32_i8 v[232:235], a[108:109], v[128:129], 0// 000000006C18: D3D700E8 0A03016C
	v_mfma_i32_16x16x32_i8 v[232:235], a[110:111], v[130:131], v[232:235]// 000000006C20: D3D700E8 0FA3056E
	buffer_load_dwordx4 a[12:15], v43, s[12:15], 0 offen       // 000000006C28: E05C1000 80830C2B
	s_add_u32 s12, s78, s12                                    // 000000006C30: 800C0C4E
	s_addc_u32 s13, 0, s13                                     // 000000006C34: 820D0D80
	v_mfma_i32_16x16x32_i8 v[236:239], a[108:109], v[152:153], 0// 000000006C38: D3D700EC 0A03316C
	v_mfma_i32_16x16x32_i8 v[236:239], a[110:111], v[154:155], v[236:239]// 000000006C40: D3D700EC 0FB3356E
	s_waitcnt vmcnt(37)                                        // 000000006C48: BF8C8F75
	v_mfma_i32_16x16x32_i8 v[208:211], a[112:113], v[132:133], v[208:211]// 000000006C4C: D3D700D0 0F430970
	v_mfma_i32_16x16x32_i8 v[208:211], a[114:115], v[134:135], v[208:211]// 000000006C54: D3D700D0 0F430D72
	buffer_load_dwordx4 a[16:19], v40, s[12:15], 0 offen       // 000000006C5C: E05C1000 80831028
	v_mfma_i32_16x16x32_i8 v[212:215], a[112:113], v[156:157], v[212:215]// 000000006C64: D3D700D4 0F533970
	v_mfma_i32_16x16x32_i8 v[212:215], a[114:115], v[158:159], v[212:215]// 000000006C6C: D3D700D4 0F533D72
	v_mfma_i32_16x16x32_i8 v[216:219], a[116:117], v[132:133], v[216:219]// 000000006C74: D3D700D8 0F630974
	v_mfma_i32_16x16x32_i8 v[216:219], a[118:119], v[134:135], v[216:219]// 000000006C7C: D3D700D8 0F630D76
	buffer_load_dwordx4 a[20:23], v41, s[12:15], 0 offen       // 000000006C84: E05C1000 80831429
	v_mfma_i32_16x16x32_i8 v[220:223], a[116:117], v[156:157], v[220:223]// 000000006C8C: D3D700DC 0F733974
	v_mfma_i32_16x16x32_i8 v[220:223], a[118:119], v[158:159], v[220:223]// 000000006C94: D3D700DC 0F733D76
	v_mfma_i32_16x16x32_i8 v[224:227], a[120:121], v[132:133], v[224:227]// 000000006C9C: D3D700E0 0F830978
	v_mfma_i32_16x16x32_i8 v[224:227], a[122:123], v[134:135], v[224:227]// 000000006CA4: D3D700E0 0F830D7A
	buffer_load_dwordx4 a[24:27], v42, s[12:15], 0 offen       // 000000006CAC: E05C1000 8083182A
	v_mfma_i32_16x16x32_i8 v[228:231], a[120:121], v[156:157], v[228:231]// 000000006CB4: D3D700E4 0F933978
	v_mfma_i32_16x16x32_i8 v[228:231], a[122:123], v[158:159], v[228:231]// 000000006CBC: D3D700E4 0F933D7A
	v_mfma_i32_16x16x32_i8 v[232:235], a[124:125], v[132:133], v[232:235]// 000000006CC4: D3D700E8 0FA3097C
	v_mfma_i32_16x16x32_i8 v[232:235], a[126:127], v[134:135], v[232:235]// 000000006CCC: D3D700E8 0FA30D7E
	buffer_load_dwordx4 a[28:31], v43, s[12:15], 0 offen       // 000000006CD4: E05C1000 80831C2B
	s_add_u32 s12, s78, s12                                    // 000000006CDC: 800C0C4E
	s_addc_u32 s13, 0, s13                                     // 000000006CE0: 820D0D80
	v_mfma_i32_16x16x32_i8 v[236:239], a[124:125], v[156:157], v[236:239]// 000000006CE4: D3D700EC 0FB3397C
	v_mfma_i32_16x16x32_i8 v[236:239], a[126:127], v[158:159], v[236:239]// 000000006CEC: D3D700EC 0FB33D7E
	s_waitcnt vmcnt(37)                                        // 000000006CF4: BF8C8F75
	v_mfma_i32_16x16x32_i8 v[208:211], a[128:129], v[136:137], v[208:211]// 000000006CF8: D3D700D0 0F431180
	v_mfma_i32_16x16x32_i8 v[208:211], a[130:131], v[138:139], v[208:211]// 000000006D00: D3D700D0 0F431582
	buffer_load_dwordx4 a[32:35], v40, s[12:15], 0 offen       // 000000006D08: E05C1000 80832028
	v_mfma_i32_16x16x32_i8 v[212:215], a[128:129], v[160:161], v[212:215]// 000000006D10: D3D700D4 0F534180
	v_mfma_i32_16x16x32_i8 v[212:215], a[130:131], v[162:163], v[212:215]// 000000006D18: D3D700D4 0F534582
	v_mfma_i32_16x16x32_i8 v[216:219], a[132:133], v[136:137], v[216:219]// 000000006D20: D3D700D8 0F631184
	v_mfma_i32_16x16x32_i8 v[216:219], a[134:135], v[138:139], v[216:219]// 000000006D28: D3D700D8 0F631586
	buffer_load_dwordx4 a[36:39], v41, s[12:15], 0 offen       // 000000006D30: E05C1000 80832429
	v_mfma_i32_16x16x32_i8 v[220:223], a[132:133], v[160:161], v[220:223]// 000000006D38: D3D700DC 0F734184
	v_mfma_i32_16x16x32_i8 v[220:223], a[134:135], v[162:163], v[220:223]// 000000006D40: D3D700DC 0F734586
	v_mfma_i32_16x16x32_i8 v[224:227], a[136:137], v[136:137], v[224:227]// 000000006D48: D3D700E0 0F831188
	v_mfma_i32_16x16x32_i8 v[224:227], a[138:139], v[138:139], v[224:227]// 000000006D50: D3D700E0 0F83158A
	buffer_load_dwordx4 a[40:43], v42, s[12:15], 0 offen       // 000000006D58: E05C1000 8083282A
	v_mfma_i32_16x16x32_i8 v[228:231], a[136:137], v[160:161], v[228:231]// 000000006D60: D3D700E4 0F934188
	v_mfma_i32_16x16x32_i8 v[228:231], a[138:139], v[162:163], v[228:231]// 000000006D68: D3D700E4 0F93458A
	v_mfma_i32_16x16x32_i8 v[232:235], a[140:141], v[136:137], v[232:235]// 000000006D70: D3D700E8 0FA3118C
	v_mfma_i32_16x16x32_i8 v[232:235], a[142:143], v[138:139], v[232:235]// 000000006D78: D3D700E8 0FA3158E
	buffer_load_dwordx4 a[44:47], v43, s[12:15], 0 offen       // 000000006D80: E05C1000 80832C2B
	s_add_u32 s12, s78, s12                                    // 000000006D88: 800C0C4E
	s_addc_u32 s13, 0, s13                                     // 000000006D8C: 820D0D80
	v_mfma_i32_16x16x32_i8 v[236:239], a[140:141], v[160:161], v[236:239]// 000000006D90: D3D700EC 0FB3418C
	v_mfma_i32_16x16x32_i8 v[236:239], a[142:143], v[162:163], v[236:239]// 000000006D98: D3D700EC 0FB3458E
	s_waitcnt vmcnt(37)                                        // 000000006DA0: BF8C8F75
	v_mfma_i32_16x16x32_i8 v[208:211], a[144:145], v[140:141], v[208:211]// 000000006DA4: D3D700D0 0F431990
	v_mfma_i32_16x16x32_i8 v[208:211], a[146:147], v[142:143], v[208:211]// 000000006DAC: D3D700D0 0F431D92
	buffer_load_dwordx4 a[48:51], v40, s[12:15], 0 offen       // 000000006DB4: E05C1000 80833028
	v_mfma_i32_16x16x32_i8 v[212:215], a[144:145], v[164:165], v[212:215]// 000000006DBC: D3D700D4 0F534990
	v_mfma_i32_16x16x32_i8 v[212:215], a[146:147], v[166:167], v[212:215]// 000000006DC4: D3D700D4 0F534D92
	v_mfma_i32_16x16x32_i8 v[216:219], a[148:149], v[140:141], v[216:219]// 000000006DCC: D3D700D8 0F631994
	v_mfma_i32_16x16x32_i8 v[216:219], a[150:151], v[142:143], v[216:219]// 000000006DD4: D3D700D8 0F631D96
	buffer_load_dwordx4 a[52:55], v41, s[12:15], 0 offen       // 000000006DDC: E05C1000 80833429
	v_mfma_i32_16x16x32_i8 v[220:223], a[148:149], v[164:165], v[220:223]// 000000006DE4: D3D700DC 0F734994
	v_mfma_i32_16x16x32_i8 v[220:223], a[150:151], v[166:167], v[220:223]// 000000006DEC: D3D700DC 0F734D96
	v_mfma_i32_16x16x32_i8 v[224:227], a[152:153], v[140:141], v[224:227]// 000000006DF4: D3D700E0 0F831998
	v_mfma_i32_16x16x32_i8 v[224:227], a[154:155], v[142:143], v[224:227]// 000000006DFC: D3D700E0 0F831D9A
	buffer_load_dwordx4 a[56:59], v42, s[12:15], 0 offen       // 000000006E04: E05C1000 8083382A
	v_mfma_i32_16x16x32_i8 v[228:231], a[152:153], v[164:165], v[228:231]// 000000006E0C: D3D700E4 0F934998
	v_mfma_i32_16x16x32_i8 v[228:231], a[154:155], v[166:167], v[228:231]// 000000006E14: D3D700E4 0F934D9A
	v_mfma_i32_16x16x32_i8 v[232:235], a[156:157], v[140:141], v[232:235]// 000000006E1C: D3D700E8 0FA3199C
	v_mfma_i32_16x16x32_i8 v[232:235], a[158:159], v[142:143], v[232:235]// 000000006E24: D3D700E8 0FA31D9E
	buffer_load_dwordx4 a[60:63], v43, s[12:15], 0 offen       // 000000006E2C: E05C1000 80833C2B
	s_add_u32 s12, s78, s12                                    // 000000006E34: 800C0C4E
	s_addc_u32 s13, 0, s13                                     // 000000006E38: 820D0D80
	v_mfma_i32_16x16x32_i8 v[236:239], a[156:157], v[164:165], v[236:239]// 000000006E3C: D3D700EC 0FB3499C
	v_mfma_i32_16x16x32_i8 v[236:239], a[158:159], v[166:167], v[236:239]// 000000006E44: D3D700EC 0FB34D9E
	s_waitcnt vmcnt(37)                                        // 000000006E4C: BF8C8F75
	v_mfma_i32_16x16x32_i8 v[208:211], a[160:161], v[144:145], v[208:211]// 000000006E50: D3D700D0 0F4321A0
	v_mfma_i32_16x16x32_i8 v[208:211], a[162:163], v[146:147], v[208:211]// 000000006E58: D3D700D0 0F4325A2
	buffer_load_dwordx4 a[64:67], v40, s[12:15], 0 offen       // 000000006E60: E05C1000 80834028
	v_mfma_i32_16x16x32_i8 v[212:215], a[160:161], v[168:169], v[212:215]// 000000006E68: D3D700D4 0F5351A0
	v_mfma_i32_16x16x32_i8 v[212:215], a[162:163], v[170:171], v[212:215]// 000000006E70: D3D700D4 0F5355A2
	v_mfma_i32_16x16x32_i8 v[216:219], a[164:165], v[144:145], v[216:219]// 000000006E78: D3D700D8 0F6321A4
	v_mfma_i32_16x16x32_i8 v[216:219], a[166:167], v[146:147], v[216:219]// 000000006E80: D3D700D8 0F6325A6
	buffer_load_dwordx4 a[68:71], v41, s[12:15], 0 offen       // 000000006E88: E05C1000 80834429
	v_mfma_i32_16x16x32_i8 v[220:223], a[164:165], v[168:169], v[220:223]// 000000006E90: D3D700DC 0F7351A4
	v_mfma_i32_16x16x32_i8 v[220:223], a[166:167], v[170:171], v[220:223]// 000000006E98: D3D700DC 0F7355A6
	v_mfma_i32_16x16x32_i8 v[224:227], a[168:169], v[144:145], v[224:227]// 000000006EA0: D3D700E0 0F8321A8
	v_mfma_i32_16x16x32_i8 v[224:227], a[170:171], v[146:147], v[224:227]// 000000006EA8: D3D700E0 0F8325AA
	buffer_load_dwordx4 a[72:75], v42, s[12:15], 0 offen       // 000000006EB0: E05C1000 8083482A
	v_mfma_i32_16x16x32_i8 v[228:231], a[168:169], v[168:169], v[228:231]// 000000006EB8: D3D700E4 0F9351A8
	v_mfma_i32_16x16x32_i8 v[228:231], a[170:171], v[170:171], v[228:231]// 000000006EC0: D3D700E4 0F9355AA
	v_mfma_i32_16x16x32_i8 v[232:235], a[172:173], v[144:145], v[232:235]// 000000006EC8: D3D700E8 0FA321AC
	v_mfma_i32_16x16x32_i8 v[232:235], a[174:175], v[146:147], v[232:235]// 000000006ED0: D3D700E8 0FA325AE
	buffer_load_dwordx4 a[76:79], v43, s[12:15], 0 offen       // 000000006ED8: E05C1000 80834C2B
	s_add_u32 s12, s78, s12                                    // 000000006EE0: 800C0C4E
	s_addc_u32 s13, 0, s13                                     // 000000006EE4: 820D0D80
	v_mfma_i32_16x16x32_i8 v[236:239], a[172:173], v[168:169], v[236:239]// 000000006EE8: D3D700EC 0FB351AC
	v_mfma_i32_16x16x32_i8 v[236:239], a[174:175], v[170:171], v[236:239]// 000000006EF0: D3D700EC 0FB355AE
	s_waitcnt vmcnt(36)                                        // 000000006EF8: BF8C8F74
	v_mfma_i32_16x16x32_i8 v[208:211], a[176:177], v[148:149], v[208:211]// 000000006EFC: D3D700D0 0F4329B0
	v_mfma_i32_16x16x32_i8 v[208:211], a[178:179], v[150:151], v[208:211]// 000000006F04: D3D700D0 0F432DB2
	buffer_load_dwordx4 a[80:83], v40, s[12:15], 0 offen       // 000000006F0C: E05C1000 80835028
	v_mfma_i32_16x16x32_i8 v[212:215], a[176:177], v[172:173], v[212:215]// 000000006F14: D3D700D4 0F5359B0
	v_mfma_i32_16x16x32_i8 v[212:215], a[178:179], v[174:175], v[212:215]// 000000006F1C: D3D700D4 0F535DB2
	buffer_load_dword v12, v5, s[16:19], 0 offen               // 000000006F24: E0501000 80040C05
	v_mfma_i32_16x16x32_i8 v[216:219], a[180:181], v[148:149], v[216:219]// 000000006F2C: D3D700D8 0F6329B4
	v_mfma_i32_16x16x32_i8 v[216:219], a[182:183], v[150:151], v[216:219]// 000000006F34: D3D700D8 0F632DB6
	buffer_load_dwordx4 a[84:87], v41, s[12:15], 0 offen       // 000000006F3C: E05C1000 80835429
	v_mfma_i32_16x16x32_i8 v[220:223], a[180:181], v[172:173], v[220:223]// 000000006F44: D3D700DC 0F7359B4
	v_mfma_i32_16x16x32_i8 v[220:223], a[182:183], v[174:175], v[220:223]// 000000006F4C: D3D700DC 0F735DB6
	v_mfma_i32_16x16x32_i8 v[224:227], a[184:185], v[148:149], v[224:227]// 000000006F54: D3D700E0 0F8329B8
	v_mfma_i32_16x16x32_i8 v[224:227], a[186:187], v[150:151], v[224:227]// 000000006F5C: D3D700E0 0F832DBA
	buffer_load_dwordx4 a[88:91], v42, s[12:15], 0 offen       // 000000006F64: E05C1000 8083582A
	v_mfma_i32_16x16x32_i8 v[228:231], a[184:185], v[172:173], v[228:231]// 000000006F6C: D3D700E4 0F9359B8
	v_mfma_i32_16x16x32_i8 v[228:231], a[186:187], v[174:175], v[228:231]// 000000006F74: D3D700E4 0F935DBA
	v_mfma_i32_16x16x32_i8 v[232:235], a[188:189], v[148:149], v[232:235]// 000000006F7C: D3D700E8 0FA329BC
	v_mfma_i32_16x16x32_i8 v[232:235], a[190:191], v[150:151], v[232:235]// 000000006F84: D3D700E8 0FA32DBE
	buffer_load_dwordx4 a[92:95], v43, s[12:15], 0 offen       // 000000006F8C: E05C1000 80835C2B
	v_mfma_i32_16x16x32_i8 v[236:239], a[188:189], v[172:173], v[236:239]// 000000006F94: D3D700EC 0FB359BC
	v_mfma_i32_16x16x32_i8 v[236:239], a[190:191], v[174:175], v[236:239]// 000000006F9C: D3D700EC 0FB35DBE
	s_add_u32 s60, 0x200, s80                                  // 000000006FA4: 803C50FF 00000200
	s_cmp_lt_u32 s60, s81                                      // 000000006FAC: BF0A513C
	s_cselect_b32 s56, s56, 0                                  // 000000006FB0: 85388038
	s_cselect_b32 s78, s78, 0                                  // 000000006FB4: 854E804E
	s_cselect_b32 s79, s79, 0                                  // 000000006FB8: 854F804F
	s_add_u32 s12, s56, s12                                    // 000000006FBC: 800C0C38
	s_addc_u32 s13, 0, s13                                     // 000000006FC0: 820D0D80
	s_add_u32 s16, s79, s16                                    // 000000006FC4: 8010104F
	s_addc_u32 s17, 0, s17                                     // 000000006FC8: 82111180
	v_cvt_f32_i32_e32 v208, v208                               // 000000006FCC: 7FA00BD0
	v_cvt_f32_i32_e32 v209, v209                               // 000000006FD0: 7FA20BD1
	v_cvt_f32_i32_e32 v210, v210                               // 000000006FD4: 7FA40BD2
	v_cvt_f32_i32_e32 v211, v211                               // 000000006FD8: 7FA60BD3
	v_mul_f32_e32 v208, v24, v208                              // 000000006FDC: 0BA1A118
	v_mul_f32_e32 v209, v24, v209                              // 000000006FE0: 0BA3A318
	v_mul_f32_e32 v210, v24, v210                              // 000000006FE4: 0BA5A518
	v_mul_f32_e32 v211, v24, v211                              // 000000006FE8: 0BA7A718
	v_mul_f32_dpp v208, v13, v208 row_newbcast:0 row_mask:0xf bank_mask:0xf// 000000006FEC: 0BA1A0FA FF01500D
	v_mul_f32_dpp v209, v13, v209 row_newbcast:1 row_mask:0xf bank_mask:0xf// 000000006FF4: 0BA3A2FA FF01510D
	v_mul_f32_dpp v210, v13, v210 row_newbcast:2 row_mask:0xf bank_mask:0xf// 000000006FFC: 0BA5A4FA FF01520D
	v_mul_f32_dpp v211, v13, v211 row_newbcast:3 row_mask:0xf bank_mask:0xf// 000000007004: 0BA7A6FA FF01530D
	v_mul_f32_e32 v208, v20, v208                              // 00000000700C: 0BA1A114
	v_mul_f32_e32 v209, v20, v209                              // 000000007010: 0BA3A314
	v_mul_f32_e32 v210, v20, v210                              // 000000007014: 0BA5A514
	v_mul_f32_e32 v211, v20, v211                              // 000000007018: 0BA7A714
	v_cvt_f32_i32_e32 v212, v212                               // 00000000701C: 7FA80BD4
	v_cvt_f32_i32_e32 v213, v213                               // 000000007020: 7FAA0BD5
	v_cvt_f32_i32_e32 v214, v214                               // 000000007024: 7FAC0BD6
	v_cvt_f32_i32_e32 v215, v215                               // 000000007028: 7FAE0BD7
	v_mul_f32_e32 v212, v25, v212                              // 00000000702C: 0BA9A919
	v_mul_f32_e32 v213, v25, v213                              // 000000007030: 0BABAB19
	v_mul_f32_e32 v214, v25, v214                              // 000000007034: 0BADAD19
	v_mul_f32_e32 v215, v25, v215                              // 000000007038: 0BAFAF19
	v_mul_f32_dpp v212, v13, v212 row_newbcast:0 row_mask:0xf bank_mask:0xf// 00000000703C: 0BA9A8FA FF01500D
	v_mul_f32_dpp v213, v13, v213 row_newbcast:1 row_mask:0xf bank_mask:0xf// 000000007044: 0BABAAFA FF01510D
	v_mul_f32_dpp v214, v13, v214 row_newbcast:2 row_mask:0xf bank_mask:0xf// 00000000704C: 0BADACFA FF01520D
	v_mul_f32_dpp v215, v13, v215 row_newbcast:3 row_mask:0xf bank_mask:0xf// 000000007054: 0BAFAEFA FF01530D
	v_mul_f32_e32 v212, v21, v212                              // 00000000705C: 0BA9A915
	v_mul_f32_e32 v213, v21, v213                              // 000000007060: 0BABAB15
	v_mul_f32_e32 v214, v21, v214                              // 000000007064: 0BADAD15
	v_mul_f32_e32 v215, v21, v215                              // 000000007068: 0BAFAF15
	v_cvt_f32_i32_e32 v216, v216                               // 00000000706C: 7FB00BD8
	v_cvt_f32_i32_e32 v217, v217                               // 000000007070: 7FB20BD9
	v_cvt_f32_i32_e32 v218, v218                               // 000000007074: 7FB40BDA
	v_cvt_f32_i32_e32 v219, v219                               // 000000007078: 7FB60BDB
	v_mul_f32_e32 v216, v24, v216                              // 00000000707C: 0BB1B118
	v_mul_f32_e32 v217, v24, v217                              // 000000007080: 0BB3B318
	v_mul_f32_e32 v218, v24, v218                              // 000000007084: 0BB5B518
	v_mul_f32_e32 v219, v24, v219                              // 000000007088: 0BB7B718
	v_mul_f32_dpp v216, v13, v216 row_newbcast:4 row_mask:0xf bank_mask:0xf// 00000000708C: 0BB1B0FA FF01540D
	v_mul_f32_dpp v217, v13, v217 row_newbcast:5 row_mask:0xf bank_mask:0xf// 000000007094: 0BB3B2FA FF01550D
	v_mul_f32_dpp v218, v13, v218 row_newbcast:6 row_mask:0xf bank_mask:0xf// 00000000709C: 0BB5B4FA FF01560D
	v_mul_f32_dpp v219, v13, v219 row_newbcast:7 row_mask:0xf bank_mask:0xf// 0000000070A4: 0BB7B6FA FF01570D
	v_mul_f32_e32 v216, v20, v216                              // 0000000070AC: 0BB1B114
	v_mul_f32_e32 v217, v20, v217                              // 0000000070B0: 0BB3B314
	v_mul_f32_e32 v218, v20, v218                              // 0000000070B4: 0BB5B514
	v_mul_f32_e32 v219, v20, v219                              // 0000000070B8: 0BB7B714
	v_cvt_f32_i32_e32 v220, v220                               // 0000000070BC: 7FB80BDC
	v_cvt_f32_i32_e32 v221, v221                               // 0000000070C0: 7FBA0BDD
	v_cvt_f32_i32_e32 v222, v222                               // 0000000070C4: 7FBC0BDE
	v_cvt_f32_i32_e32 v223, v223                               // 0000000070C8: 7FBE0BDF
	v_mul_f32_e32 v220, v25, v220                              // 0000000070CC: 0BB9B919
	v_mul_f32_e32 v221, v25, v221                              // 0000000070D0: 0BBBBB19
	v_mul_f32_e32 v222, v25, v222                              // 0000000070D4: 0BBDBD19
	v_mul_f32_e32 v223, v25, v223                              // 0000000070D8: 0BBFBF19
	v_mul_f32_dpp v220, v13, v220 row_newbcast:4 row_mask:0xf bank_mask:0xf// 0000000070DC: 0BB9B8FA FF01540D
	v_mul_f32_dpp v221, v13, v221 row_newbcast:5 row_mask:0xf bank_mask:0xf// 0000000070E4: 0BBBBAFA FF01550D
	v_mul_f32_dpp v222, v13, v222 row_newbcast:6 row_mask:0xf bank_mask:0xf// 0000000070EC: 0BBDBCFA FF01560D
	v_mul_f32_dpp v223, v13, v223 row_newbcast:7 row_mask:0xf bank_mask:0xf// 0000000070F4: 0BBFBEFA FF01570D
	v_mul_f32_e32 v220, v21, v220                              // 0000000070FC: 0BB9B915
	v_mul_f32_e32 v221, v21, v221                              // 000000007100: 0BBBBB15
	v_mul_f32_e32 v222, v21, v222                              // 000000007104: 0BBDBD15
	v_mul_f32_e32 v223, v21, v223                              // 000000007108: 0BBFBF15
	v_cvt_f32_i32_e32 v224, v224                               // 00000000710C: 7FC00BE0
	v_cvt_f32_i32_e32 v225, v225                               // 000000007110: 7FC20BE1
	v_cvt_f32_i32_e32 v226, v226                               // 000000007114: 7FC40BE2
	v_cvt_f32_i32_e32 v227, v227                               // 000000007118: 7FC60BE3
	v_mul_f32_e32 v224, v24, v224                              // 00000000711C: 0BC1C118
	v_mul_f32_e32 v225, v24, v225                              // 000000007120: 0BC3C318
	v_mul_f32_e32 v226, v24, v226                              // 000000007124: 0BC5C518
	v_mul_f32_e32 v227, v24, v227                              // 000000007128: 0BC7C718
	v_mul_f32_dpp v224, v13, v224 row_newbcast:8 row_mask:0xf bank_mask:0xf// 00000000712C: 0BC1C0FA FF01580D
	v_mul_f32_dpp v225, v13, v225 row_newbcast:9 row_mask:0xf bank_mask:0xf// 000000007134: 0BC3C2FA FF01590D
	v_mul_f32_dpp v226, v13, v226 row_newbcast:10 row_mask:0xf bank_mask:0xf// 00000000713C: 0BC5C4FA FF015A0D
	v_mul_f32_dpp v227, v13, v227 row_newbcast:11 row_mask:0xf bank_mask:0xf// 000000007144: 0BC7C6FA FF015B0D
	v_mul_f32_e32 v224, v20, v224                              // 00000000714C: 0BC1C114
	v_mul_f32_e32 v225, v20, v225                              // 000000007150: 0BC3C314
	v_mul_f32_e32 v226, v20, v226                              // 000000007154: 0BC5C514
	v_mul_f32_e32 v227, v20, v227                              // 000000007158: 0BC7C714
	v_cvt_f32_i32_e32 v228, v228                               // 00000000715C: 7FC80BE4
	v_cvt_f32_i32_e32 v229, v229                               // 000000007160: 7FCA0BE5
	v_cvt_f32_i32_e32 v230, v230                               // 000000007164: 7FCC0BE6
	v_cvt_f32_i32_e32 v231, v231                               // 000000007168: 7FCE0BE7
	v_mul_f32_e32 v228, v25, v228                              // 00000000716C: 0BC9C919
	v_mul_f32_e32 v229, v25, v229                              // 000000007170: 0BCBCB19
	v_mul_f32_e32 v230, v25, v230                              // 000000007174: 0BCDCD19
	v_mul_f32_e32 v231, v25, v231                              // 000000007178: 0BCFCF19
	v_mul_f32_dpp v228, v13, v228 row_newbcast:8 row_mask:0xf bank_mask:0xf// 00000000717C: 0BC9C8FA FF01580D
	v_mul_f32_dpp v229, v13, v229 row_newbcast:9 row_mask:0xf bank_mask:0xf// 000000007184: 0BCBCAFA FF01590D
	v_mul_f32_dpp v230, v13, v230 row_newbcast:10 row_mask:0xf bank_mask:0xf// 00000000718C: 0BCDCCFA FF015A0D
	v_mul_f32_dpp v231, v13, v231 row_newbcast:11 row_mask:0xf bank_mask:0xf// 000000007194: 0BCFCEFA FF015B0D
	v_mul_f32_e32 v228, v21, v228                              // 00000000719C: 0BC9C915
	v_mul_f32_e32 v229, v21, v229                              // 0000000071A0: 0BCBCB15
	v_mul_f32_e32 v230, v21, v230                              // 0000000071A4: 0BCDCD15
	v_mul_f32_e32 v231, v21, v231                              // 0000000071A8: 0BCFCF15
	v_cvt_f32_i32_e32 v232, v232                               // 0000000071AC: 7FD00BE8
	v_cvt_f32_i32_e32 v233, v233                               // 0000000071B0: 7FD20BE9
	v_cvt_f32_i32_e32 v234, v234                               // 0000000071B4: 7FD40BEA
	v_cvt_f32_i32_e32 v235, v235                               // 0000000071B8: 7FD60BEB
	v_mul_f32_e32 v232, v24, v232                              // 0000000071BC: 0BD1D118
	v_mul_f32_e32 v233, v24, v233                              // 0000000071C0: 0BD3D318
	v_mul_f32_e32 v234, v24, v234                              // 0000000071C4: 0BD5D518
	v_mul_f32_e32 v235, v24, v235                              // 0000000071C8: 0BD7D718
	v_mul_f32_dpp v232, v13, v232 row_newbcast:12 row_mask:0xf bank_mask:0xf// 0000000071CC: 0BD1D0FA FF015C0D
	v_mul_f32_dpp v233, v13, v233 row_newbcast:13 row_mask:0xf bank_mask:0xf// 0000000071D4: 0BD3D2FA FF015D0D
	v_mul_f32_dpp v234, v13, v234 row_newbcast:14 row_mask:0xf bank_mask:0xf// 0000000071DC: 0BD5D4FA FF015E0D
	v_mul_f32_dpp v235, v13, v235 row_newbcast:15 row_mask:0xf bank_mask:0xf// 0000000071E4: 0BD7D6FA FF015F0D
	v_mul_f32_e32 v232, v20, v232                              // 0000000071EC: 0BD1D114
	v_mul_f32_e32 v233, v20, v233                              // 0000000071F0: 0BD3D314
	v_mul_f32_e32 v234, v20, v234                              // 0000000071F4: 0BD5D514
	v_mul_f32_e32 v235, v20, v235                              // 0000000071F8: 0BD7D714
	v_cvt_f32_i32_e32 v236, v236                               // 0000000071FC: 7FD80BEC
	v_cvt_f32_i32_e32 v237, v237                               // 000000007200: 7FDA0BED
	v_cvt_f32_i32_e32 v238, v238                               // 000000007204: 7FDC0BEE
	v_cvt_f32_i32_e32 v239, v239                               // 000000007208: 7FDE0BEF
	v_mul_f32_e32 v236, v25, v236                              // 00000000720C: 0BD9D919
	v_mul_f32_e32 v237, v25, v237                              // 000000007210: 0BDBDB19
	v_mul_f32_e32 v238, v25, v238                              // 000000007214: 0BDDDD19
	v_mul_f32_e32 v239, v25, v239                              // 000000007218: 0BDFDF19
	v_mul_f32_dpp v236, v13, v236 row_newbcast:12 row_mask:0xf bank_mask:0xf// 00000000721C: 0BD9D8FA FF015C0D
	v_mul_f32_dpp v237, v13, v237 row_newbcast:13 row_mask:0xf bank_mask:0xf// 000000007224: 0BDBDAFA FF015D0D
	v_mul_f32_dpp v238, v13, v238 row_newbcast:14 row_mask:0xf bank_mask:0xf// 00000000722C: 0BDDDCFA FF015E0D
	v_mul_f32_dpp v239, v13, v239 row_newbcast:15 row_mask:0xf bank_mask:0xf// 000000007234: 0BDFDEFA FF015F0D
	v_mul_f32_e32 v236, v21, v236                              // 00000000723C: 0BD9D915
	v_mul_f32_e32 v237, v21, v237                              // 000000007240: 0BDBDB15
	v_mul_f32_e32 v238, v21, v238                              // 000000007244: 0BDDDD15
	v_mul_f32_e32 v239, v21, v239                              // 000000007248: 0BDFDF15
	v_cmp_u_f32_e64 s[48:49], v208, v208                       // 00000000724C: D0480030 0003A1D0
	v_add3_u32 v44, v208, v47, 1                               // 000000007254: D1FF002C 02065FD0
	v_cndmask_b32_e64 v50, v44, v46, s[48:49]                  // 00000000725C: D1000032 00C25D2C
	v_cmp_u_f32_e64 s[48:49], v209, v209                       // 000000007264: D0480030 0003A3D1
	v_add3_u32 v44, v209, v47, 1                               // 00000000726C: D1FF002C 02065FD1
	v_cndmask_b32_e64 v51, v44, v46, s[48:49]                  // 000000007274: D1000033 00C25D2C
	v_perm_b32 v208, v51, v50, s52                             // 00000000727C: D1ED00D0 00D26533
	v_cmp_u_f32_e64 s[48:49], v210, v210                       // 000000007284: D0480030 0003A5D2
	v_add3_u32 v44, v210, v47, 1                               // 00000000728C: D1FF002C 02065FD2
	v_cndmask_b32_e64 v50, v44, v46, s[48:49]                  // 000000007294: D1000032 00C25D2C
	v_cmp_u_f32_e64 s[48:49], v211, v211                       // 00000000729C: D0480030 0003A7D3
	v_add3_u32 v44, v211, v47, 1                               // 0000000072A4: D1FF002C 02065FD3
	v_cndmask_b32_e64 v51, v44, v46, s[48:49]                  // 0000000072AC: D1000033 00C25D2C
	v_perm_b32 v209, v51, v50, s52                             // 0000000072B4: D1ED00D1 00D26533
	v_cmp_u_f32_e64 s[48:49], v212, v212                       // 0000000072BC: D0480030 0003A9D4
	v_add3_u32 v44, v212, v47, 1                               // 0000000072C4: D1FF002C 02065FD4
	v_cndmask_b32_e64 v50, v44, v46, s[48:49]                  // 0000000072CC: D1000032 00C25D2C
	v_cmp_u_f32_e64 s[48:49], v213, v213                       // 0000000072D4: D0480030 0003ABD5
	v_add3_u32 v44, v213, v47, 1                               // 0000000072DC: D1FF002C 02065FD5
	v_cndmask_b32_e64 v51, v44, v46, s[48:49]                  // 0000000072E4: D1000033 00C25D2C
	v_perm_b32 v210, v51, v50, s52                             // 0000000072EC: D1ED00D2 00D26533
	v_cmp_u_f32_e64 s[48:49], v214, v214                       // 0000000072F4: D0480030 0003ADD6
	v_add3_u32 v44, v214, v47, 1                               // 0000000072FC: D1FF002C 02065FD6
	v_cndmask_b32_e64 v50, v44, v46, s[48:49]                  // 000000007304: D1000032 00C25D2C
	v_cmp_u_f32_e64 s[48:49], v215, v215                       // 00000000730C: D0480030 0003AFD7
	v_add3_u32 v44, v215, v47, 1                               // 000000007314: D1FF002C 02065FD7
	v_cndmask_b32_e64 v51, v44, v46, s[48:49]                  // 00000000731C: D1000033 00C25D2C
	v_perm_b32 v211, v51, v50, s52                             // 000000007324: D1ED00D3 00D26533
	v_cmp_u_f32_e64 s[48:49], v216, v216                       // 00000000732C: D0480030 0003B1D8
	v_add3_u32 v44, v216, v47, 1                               // 000000007334: D1FF002C 02065FD8
	v_cndmask_b32_e64 v50, v44, v46, s[48:49]                  // 00000000733C: D1000032 00C25D2C
	v_cmp_u_f32_e64 s[48:49], v217, v217                       // 000000007344: D0480030 0003B3D9
	v_add3_u32 v44, v217, v47, 1                               // 00000000734C: D1FF002C 02065FD9
	v_cndmask_b32_e64 v51, v44, v46, s[48:49]                  // 000000007354: D1000033 00C25D2C
	v_perm_b32 v212, v51, v50, s52                             // 00000000735C: D1ED00D4 00D26533
	v_cmp_u_f32_e64 s[48:49], v218, v218                       // 000000007364: D0480030 0003B5DA
	v_add3_u32 v44, v218, v47, 1                               // 00000000736C: D1FF002C 02065FDA
	v_cndmask_b32_e64 v50, v44, v46, s[48:49]                  // 000000007374: D1000032 00C25D2C
	v_cmp_u_f32_e64 s[48:49], v219, v219                       // 00000000737C: D0480030 0003B7DB
	v_add3_u32 v44, v219, v47, 1                               // 000000007384: D1FF002C 02065FDB
	v_cndmask_b32_e64 v51, v44, v46, s[48:49]                  // 00000000738C: D1000033 00C25D2C
	v_perm_b32 v213, v51, v50, s52                             // 000000007394: D1ED00D5 00D26533
	v_cmp_u_f32_e64 s[48:49], v220, v220                       // 00000000739C: D0480030 0003B9DC
	v_add3_u32 v44, v220, v47, 1                               // 0000000073A4: D1FF002C 02065FDC
	v_cndmask_b32_e64 v50, v44, v46, s[48:49]                  // 0000000073AC: D1000032 00C25D2C
	v_cmp_u_f32_e64 s[48:49], v221, v221                       // 0000000073B4: D0480030 0003BBDD
	v_add3_u32 v44, v221, v47, 1                               // 0000000073BC: D1FF002C 02065FDD
	v_cndmask_b32_e64 v51, v44, v46, s[48:49]                  // 0000000073C4: D1000033 00C25D2C
	v_perm_b32 v214, v51, v50, s52                             // 0000000073CC: D1ED00D6 00D26533
	v_cmp_u_f32_e64 s[48:49], v222, v222                       // 0000000073D4: D0480030 0003BDDE
	v_add3_u32 v44, v222, v47, 1                               // 0000000073DC: D1FF002C 02065FDE
	v_cndmask_b32_e64 v50, v44, v46, s[48:49]                  // 0000000073E4: D1000032 00C25D2C
	v_cmp_u_f32_e64 s[48:49], v223, v223                       // 0000000073EC: D0480030 0003BFDF
	v_add3_u32 v44, v223, v47, 1                               // 0000000073F4: D1FF002C 02065FDF
	v_cndmask_b32_e64 v51, v44, v46, s[48:49]                  // 0000000073FC: D1000033 00C25D2C
	v_perm_b32 v215, v51, v50, s52                             // 000000007404: D1ED00D7 00D26533
	v_cmp_u_f32_e64 s[48:49], v224, v224                       // 00000000740C: D0480030 0003C1E0
	v_add3_u32 v44, v224, v47, 1                               // 000000007414: D1FF002C 02065FE0
	v_cndmask_b32_e64 v50, v44, v46, s[48:49]                  // 00000000741C: D1000032 00C25D2C
	v_cmp_u_f32_e64 s[48:49], v225, v225                       // 000000007424: D0480030 0003C3E1
	v_add3_u32 v44, v225, v47, 1                               // 00000000742C: D1FF002C 02065FE1
	v_cndmask_b32_e64 v51, v44, v46, s[48:49]                  // 000000007434: D1000033 00C25D2C
	v_perm_b32 v216, v51, v50, s52                             // 00000000743C: D1ED00D8 00D26533
	v_cmp_u_f32_e64 s[48:49], v226, v226                       // 000000007444: D0480030 0003C5E2
	v_add3_u32 v44, v226, v47, 1                               // 00000000744C: D1FF002C 02065FE2
	v_cndmask_b32_e64 v50, v44, v46, s[48:49]                  // 000000007454: D1000032 00C25D2C
	v_cmp_u_f32_e64 s[48:49], v227, v227                       // 00000000745C: D0480030 0003C7E3
	v_add3_u32 v44, v227, v47, 1                               // 000000007464: D1FF002C 02065FE3
	v_cndmask_b32_e64 v51, v44, v46, s[48:49]                  // 00000000746C: D1000033 00C25D2C
	v_perm_b32 v217, v51, v50, s52                             // 000000007474: D1ED00D9 00D26533
	v_cmp_u_f32_e64 s[48:49], v228, v228                       // 00000000747C: D0480030 0003C9E4
	v_add3_u32 v44, v228, v47, 1                               // 000000007484: D1FF002C 02065FE4
	v_cndmask_b32_e64 v50, v44, v46, s[48:49]                  // 00000000748C: D1000032 00C25D2C
	v_cmp_u_f32_e64 s[48:49], v229, v229                       // 000000007494: D0480030 0003CBE5
	v_add3_u32 v44, v229, v47, 1                               // 00000000749C: D1FF002C 02065FE5
	v_cndmask_b32_e64 v51, v44, v46, s[48:49]                  // 0000000074A4: D1000033 00C25D2C
	v_perm_b32 v218, v51, v50, s52                             // 0000000074AC: D1ED00DA 00D26533
	v_cmp_u_f32_e64 s[48:49], v230, v230                       // 0000000074B4: D0480030 0003CDE6
	v_add3_u32 v44, v230, v47, 1                               // 0000000074BC: D1FF002C 02065FE6
	v_cndmask_b32_e64 v50, v44, v46, s[48:49]                  // 0000000074C4: D1000032 00C25D2C
	v_cmp_u_f32_e64 s[48:49], v231, v231                       // 0000000074CC: D0480030 0003CFE7
	v_add3_u32 v44, v231, v47, 1                               // 0000000074D4: D1FF002C 02065FE7
	v_cndmask_b32_e64 v51, v44, v46, s[48:49]                  // 0000000074DC: D1000033 00C25D2C
	v_perm_b32 v219, v51, v50, s52                             // 0000000074E4: D1ED00DB 00D26533
	v_cmp_u_f32_e64 s[48:49], v232, v232                       // 0000000074EC: D0480030 0003D1E8
	v_add3_u32 v44, v232, v47, 1                               // 0000000074F4: D1FF002C 02065FE8
	v_cndmask_b32_e64 v50, v44, v46, s[48:49]                  // 0000000074FC: D1000032 00C25D2C
	v_cmp_u_f32_e64 s[48:49], v233, v233                       // 000000007504: D0480030 0003D3E9
	v_add3_u32 v44, v233, v47, 1                               // 00000000750C: D1FF002C 02065FE9
	v_cndmask_b32_e64 v51, v44, v46, s[48:49]                  // 000000007514: D1000033 00C25D2C
	v_perm_b32 v220, v51, v50, s52                             // 00000000751C: D1ED00DC 00D26533
	v_cmp_u_f32_e64 s[48:49], v234, v234                       // 000000007524: D0480030 0003D5EA
	v_add3_u32 v44, v234, v47, 1                               // 00000000752C: D1FF002C 02065FEA
	v_cndmask_b32_e64 v50, v44, v46, s[48:49]                  // 000000007534: D1000032 00C25D2C
	v_cmp_u_f32_e64 s[48:49], v235, v235                       // 00000000753C: D0480030 0003D7EB
	v_add3_u32 v44, v235, v47, 1                               // 000000007544: D1FF002C 02065FEB
	v_cndmask_b32_e64 v51, v44, v46, s[48:49]                  // 00000000754C: D1000033 00C25D2C
	v_perm_b32 v221, v51, v50, s52                             // 000000007554: D1ED00DD 00D26533
	v_cmp_u_f32_e64 s[48:49], v236, v236                       // 00000000755C: D0480030 0003D9EC
	v_add3_u32 v44, v236, v47, 1                               // 000000007564: D1FF002C 02065FEC
	v_cndmask_b32_e64 v50, v44, v46, s[48:49]                  // 00000000756C: D1000032 00C25D2C
	v_cmp_u_f32_e64 s[48:49], v237, v237                       // 000000007574: D0480030 0003DBED
	v_add3_u32 v44, v237, v47, 1                               // 00000000757C: D1FF002C 02065FED
	v_cndmask_b32_e64 v51, v44, v46, s[48:49]                  // 000000007584: D1000033 00C25D2C
	v_perm_b32 v222, v51, v50, s52                             // 00000000758C: D1ED00DE 00D26533
	v_cmp_u_f32_e64 s[48:49], v238, v238                       // 000000007594: D0480030 0003DDEE
	v_add3_u32 v44, v238, v47, 1                               // 00000000759C: D1FF002C 02065FEE
	v_cndmask_b32_e64 v50, v44, v46, s[48:49]                  // 0000000075A4: D1000032 00C25D2C
	v_cmp_u_f32_e64 s[48:49], v239, v239                       // 0000000075AC: D0480030 0003DFEF
	v_add3_u32 v44, v239, v47, 1                               // 0000000075B4: D1FF002C 02065FEF
	v_cndmask_b32_e64 v51, v44, v46, s[48:49]                  // 0000000075BC: D1000033 00C25D2C
	v_perm_b32 v223, v51, v50, s52                             // 0000000075C4: D1ED00DF 00D26533
	ds_write_b64 v3, v[208:209] offset:30976                   // 0000000075CC: D89A7900 0000D003
	ds_write_b64 v3, v[210:211] offset:39680                   // 0000000075D4: D89A9B00 0000D203
	ds_write_b64 v3, v[212:213] offset:33152                   // 0000000075DC: D89A8180 0000D403
	ds_write_b64 v3, v[214:215] offset:41856                   // 0000000075E4: D89AA380 0000D603
	ds_write_b64 v3, v[216:217] offset:35328                   // 0000000075EC: D89A8A00 0000D803
	ds_write_b64 v3, v[218:219] offset:44032                   // 0000000075F4: D89AAC00 0000DA03
	ds_write_b64 v3, v[220:221] offset:37504                   // 0000000075FC: D89A9280 0000DC03
	ds_write_b64 v3, v[222:223] offset:46208                   // 000000007604: D89AB480 0000DE03
	s_waitcnt lgkmcnt(0)                                       // 00000000760C: BF8CC07F
	s_barrier                                                  // 000000007610: BF8A0000
	ds_read_b32 v64, v4 offset:30976                           // 000000007614: D86C7900 40000004
	ds_read_b32 v65, v4 offset:35328                           // 00000000761C: D86C8A00 41000004
	ds_read_b32 v66, v4 offset:31008                           // 000000007624: D86C7920 42000004
	ds_read_b32 v67, v4 offset:35360                           // 00000000762C: D86C8A20 43000004
	ds_read_b32 v68, v4 offset:31040                           // 000000007634: D86C7940 44000004
	ds_read_b32 v69, v4 offset:35392                           // 00000000763C: D86C8A40 45000004
	ds_read_b32 v70, v4 offset:31072                           // 000000007644: D86C7960 46000004
	ds_read_b32 v71, v4 offset:35424                           // 00000000764C: D86C8A60 47000004
	ds_read_b32 v72, v4 offset:39680                           // 000000007654: D86C9B00 48000004
	ds_read_b32 v73, v4 offset:44032                           // 00000000765C: D86CAC00 49000004
	ds_read_b32 v74, v4 offset:39712                           // 000000007664: D86C9B20 4A000004
	ds_read_b32 v75, v4 offset:44064                           // 00000000766C: D86CAC20 4B000004
	ds_read_b32 v76, v4 offset:39744                           // 000000007674: D86C9B40 4C000004
	ds_read_b32 v77, v4 offset:44096                           // 00000000767C: D86CAC40 4D000004
	ds_read_b32 v78, v4 offset:39776                           // 000000007684: D86C9B60 4E000004
	ds_read_b32 v79, v4 offset:44128                           // 00000000768C: D86CAC60 4F000004
	s_waitcnt lgkmcnt(0)                                       // 000000007694: BF8CC07F
	s_mov_b64 exec, s[20:21]                                   // 000000007698: BEFE0114
	global_atomic_pk_add_f16 v80, v64, s[8:9]                  // 00000000769C: DD388000 00084050
	s_mov_b64 exec, s[36:37]                                   // 0000000076A4: BEFE0124
	s_mov_b64 exec, s[20:21]                                   // 0000000076A8: BEFE0114
	global_atomic_pk_add_f16 v80, v65, s[8:9] offset:256       // 0000000076AC: DD388100 00084150
	s_mov_b64 exec, s[36:37]                                   // 0000000076B4: BEFE0124
	s_mov_b64 exec, s[22:23]                                   // 0000000076B8: BEFE0116
	global_atomic_pk_add_f16 v82, v66, s[8:9]                  // 0000000076BC: DD388000 00084252
	s_mov_b64 exec, s[36:37]                                   // 0000000076C4: BEFE0124
	s_mov_b64 exec, s[22:23]                                   // 0000000076C8: BEFE0116
	global_atomic_pk_add_f16 v82, v67, s[8:9] offset:256       // 0000000076CC: DD388100 00084352
	s_mov_b64 exec, s[36:37]                                   // 0000000076D4: BEFE0124
	s_mov_b64 exec, s[24:25]                                   // 0000000076D8: BEFE0118
	global_atomic_pk_add_f16 v84, v68, s[8:9]                  // 0000000076DC: DD388000 00084454
	s_mov_b64 exec, s[36:37]                                   // 0000000076E4: BEFE0124
	s_mov_b64 exec, s[24:25]                                   // 0000000076E8: BEFE0118
	global_atomic_pk_add_f16 v84, v69, s[8:9] offset:256       // 0000000076EC: DD388100 00084554
	s_mov_b64 exec, s[36:37]                                   // 0000000076F4: BEFE0124
	s_mov_b64 exec, s[26:27]                                   // 0000000076F8: BEFE011A
	global_atomic_pk_add_f16 v86, v70, s[8:9]                  // 0000000076FC: DD388000 00084656
	s_mov_b64 exec, s[36:37]                                   // 000000007704: BEFE0124
	s_mov_b64 exec, s[26:27]                                   // 000000007708: BEFE011A
	global_atomic_pk_add_f16 v86, v71, s[8:9] offset:256       // 00000000770C: DD388100 00084756
	s_mov_b64 exec, s[36:37]                                   // 000000007714: BEFE0124
	s_mov_b64 exec, s[28:29]                                   // 000000007718: BEFE011C
	global_atomic_pk_add_f16 v88, v72, s[8:9]                  // 00000000771C: DD388000 00084858
	s_mov_b64 exec, s[36:37]                                   // 000000007724: BEFE0124
	s_mov_b64 exec, s[28:29]                                   // 000000007728: BEFE011C
	global_atomic_pk_add_f16 v88, v73, s[8:9] offset:256       // 00000000772C: DD388100 00084958
	s_mov_b64 exec, s[36:37]                                   // 000000007734: BEFE0124
	s_mov_b64 exec, s[30:31]                                   // 000000007738: BEFE011E
	global_atomic_pk_add_f16 v90, v74, s[8:9]                  // 00000000773C: DD388000 00084A5A
	s_mov_b64 exec, s[36:37]                                   // 000000007744: BEFE0124
	s_mov_b64 exec, s[30:31]                                   // 000000007748: BEFE011E
	global_atomic_pk_add_f16 v90, v75, s[8:9] offset:256       // 00000000774C: DD388100 00084B5A
	s_mov_b64 exec, s[36:37]                                   // 000000007754: BEFE0124
	s_mov_b64 exec, s[32:33]                                   // 000000007758: BEFE0120
	global_atomic_pk_add_f16 v92, v76, s[8:9]                  // 00000000775C: DD388000 00084C5C
	s_mov_b64 exec, s[36:37]                                   // 000000007764: BEFE0124
	s_mov_b64 exec, s[32:33]                                   // 000000007768: BEFE0120
	global_atomic_pk_add_f16 v92, v77, s[8:9] offset:256       // 00000000776C: DD388100 00084D5C
	s_mov_b64 exec, s[36:37]                                   // 000000007774: BEFE0124
	s_mov_b64 exec, s[34:35]                                   // 000000007778: BEFE0122
	global_atomic_pk_add_f16 v94, v78, s[8:9]                  // 00000000777C: DD388000 00084E5E
	s_mov_b64 exec, s[36:37]                                   // 000000007784: BEFE0124
	s_mov_b64 exec, s[34:35]                                   // 000000007788: BEFE0122
	global_atomic_pk_add_f16 v94, v79, s[8:9] offset:256       // 00000000778C: DD388100 00084F5E
	s_mov_b64 exec, s[36:37]                                   // 000000007794: BEFE0124
	s_add_u32 s8, s59, s8                                      // 000000007798: 8008083B
	s_addc_u32 s9, 0, s9                                       // 00000000779C: 82090980
	s_addk_i32 s80, 0x100                                      // 0000000077A0: B7500100
	s_cmp_lt_i32 s80, s81                                      // 0000000077A4: BF045150
	s_cbranch_scc0 label_126C                                  // 0000000077A8: BF840001
	s_branch label_0C61                                        // 0000000077AC: BF82F9F5

00000000000077b0 <label_126C>:
	s_nop 0                                                    // 0000000077B0: BF800000
	s_nop 0                                                    // 0000000077B4: BF800000
	s_branch label_223B                                        // 0000000077B8: BF820FCC

00000000000077bc <label_126F>:
	s_waitcnt vmcnt(16) lgkmcnt(0)                             // 0000000077BC: BF8C4070
	s_barrier                                                  // 0000000077C0: BF8A0000
	v_mfma_i32_16x16x32_i8 v[128:131], a[0:1], v[176:177], v[128:131]// 0000000077C4: D3D70080 0E036100
	buffer_load_dwordx4 a[96:99], v34, s[92:95], 0 offen       // 0000000077CC: E05C1000 80976022
	v_mfma_i32_16x16x32_i8 v[128:131], a[2:3], v[178:179], v[128:131]// 0000000077D4: D3D70080 0E036502
	v_mfma_i32_16x16x32_i8 v[128:131], a[4:5], v[180:181], v[128:131]// 0000000077DC: D3D70080 0E036904
	buffer_load_dword v26, s[20:23], 0 offen lds               // 0000000077E4: E0511000 8005001A
	s_add_u32 m0, 0x100, s51                                   // 0000000077EC: 807C33FF 00000100
	v_mfma_i32_16x16x32_i8 v[128:131], a[6:7], v[182:183], v[128:131]// 0000000077F4: D3D70080 0E036D06
	v_mfma_i32_16x16x32_i8 v[128:131], a[8:9], v[184:185], v[128:131]// 0000000077FC: D3D70080 0E037108
	buffer_load_dwordx4 a[100:103], v34, s[92:95], 0 offen offset:1024// 000000007804: E05C1400 80976422
	v_mfma_i32_16x16x32_i8 v[128:131], a[10:11], v[186:187], v[128:131]// 00000000780C: D3D70080 0E03750A
	v_mfma_i32_16x16x32_i8 v[128:131], a[12:13], v[188:189], v[128:131]// 000000007814: D3D70080 0E03790C
	buffer_load_dword v27, s[20:23], 0 offen lds               // 00000000781C: E0511000 8005001B
	s_add_u32 m0, 0x200, s51                                   // 000000007824: 807C33FF 00000200
	v_mfma_i32_16x16x32_i8 v[128:131], a[14:15], v[190:191], v[128:131]// 00000000782C: D3D70080 0E037D0E
	v_mfma_i32_16x16x32_i8 v[132:135], a[0:1], v[192:193], v[132:135]// 000000007834: D3D70084 0E138100
	buffer_load_dwordx4 a[104:107], v34, s[92:95], 0 offen offset:2048// 00000000783C: E05C1800 80976822
	v_mfma_i32_16x16x32_i8 v[132:135], a[2:3], v[194:195], v[132:135]// 000000007844: D3D70084 0E138502
	v_mfma_i32_16x16x32_i8 v[132:135], a[4:5], v[196:197], v[132:135]// 00000000784C: D3D70084 0E138904
	buffer_load_dword v28, s[20:23], 0 offen lds               // 000000007854: E0511000 8005001C
	s_add_u32 m0, 0x300, s51                                   // 00000000785C: 807C33FF 00000300
	v_mfma_i32_16x16x32_i8 v[132:135], a[6:7], v[198:199], v[132:135]// 000000007864: D3D70084 0E138D06
	v_mfma_i32_16x16x32_i8 v[132:135], a[8:9], v[200:201], v[132:135]// 00000000786C: D3D70084 0E139108
	buffer_load_dwordx4 a[108:111], v34, s[92:95], 0 offen offset:3072// 000000007874: E05C1C00 80976C22
	v_mfma_i32_16x16x32_i8 v[132:135], a[10:11], v[202:203], v[132:135]// 00000000787C: D3D70084 0E13950A
	v_mfma_i32_16x16x32_i8 v[132:135], a[12:13], v[204:205], v[132:135]// 000000007884: D3D70084 0E13990C
	buffer_load_dword v29, s[20:23], 0 offen lds               // 00000000788C: E0511000 8005001D
	s_add_u32 m0, 0x400, s51                                   // 000000007894: 807C33FF 00000400
	v_mfma_i32_16x16x32_i8 v[132:135], a[14:15], v[206:207], v[132:135]// 00000000789C: D3D70084 0E139D0E
	v_mfma_i32_16x16x32_i8 v[136:139], a[16:17], v[176:177], v[136:139]// 0000000078A4: D3D70088 0E236110
	buffer_load_dwordx4 a[112:115], v35, s[92:95], 0 offen     // 0000000078AC: E05C1000 80977023
	v_mfma_i32_16x16x32_i8 v[136:139], a[18:19], v[178:179], v[136:139]// 0000000078B4: D3D70088 0E236512
	v_mfma_i32_16x16x32_i8 v[136:139], a[20:21], v[180:181], v[136:139]// 0000000078BC: D3D70088 0E236914
	buffer_load_dword v30, s[20:23], 0 offen lds               // 0000000078C4: E0511000 8005001E
	s_add_u32 m0, 0x500, s51                                   // 0000000078CC: 807C33FF 00000500
	v_mfma_i32_16x16x32_i8 v[136:139], a[22:23], v[182:183], v[136:139]// 0000000078D4: D3D70088 0E236D16
	v_mfma_i32_16x16x32_i8 v[136:139], a[24:25], v[184:185], v[136:139]// 0000000078DC: D3D70088 0E237118
	buffer_load_dwordx4 a[116:119], v35, s[92:95], 0 offen offset:1024// 0000000078E4: E05C1400 80977423
	v_mfma_i32_16x16x32_i8 v[136:139], a[26:27], v[186:187], v[136:139]// 0000000078EC: D3D70088 0E23751A
	v_mfma_i32_16x16x32_i8 v[136:139], a[28:29], v[188:189], v[136:139]// 0000000078F4: D3D70088 0E23791C
	buffer_load_dword v31, s[20:23], 0 offen lds               // 0000000078FC: E0511000 8005001F
	s_add_u32 m0, 0x600, s51                                   // 000000007904: 807C33FF 00000600
	v_mfma_i32_16x16x32_i8 v[136:139], a[30:31], v[190:191], v[136:139]// 00000000790C: D3D70088 0E237D1E
	v_mfma_i32_16x16x32_i8 v[140:143], a[16:17], v[192:193], v[140:143]// 000000007914: D3D7008C 0E338110
	buffer_load_dwordx4 a[120:123], v35, s[92:95], 0 offen offset:2048// 00000000791C: E05C1800 80977823
	v_mfma_i32_16x16x32_i8 v[140:143], a[18:19], v[194:195], v[140:143]// 000000007924: D3D7008C 0E338512
	v_mfma_i32_16x16x32_i8 v[140:143], a[20:21], v[196:197], v[140:143]// 00000000792C: D3D7008C 0E338914
	buffer_load_dword v32, s[20:23], 0 offen lds               // 000000007934: E0511000 80050020
	s_add_u32 m0, 0x700, s51                                   // 00000000793C: 807C33FF 00000700
	v_mfma_i32_16x16x32_i8 v[140:143], a[22:23], v[198:199], v[140:143]// 000000007944: D3D7008C 0E338D16
	v_mfma_i32_16x16x32_i8 v[140:143], a[24:25], v[200:201], v[140:143]// 00000000794C: D3D7008C 0E339118
	buffer_load_dwordx4 a[124:127], v35, s[92:95], 0 offen offset:3072// 000000007954: E05C1C00 80977C23
	v_mfma_i32_16x16x32_i8 v[140:143], a[26:27], v[202:203], v[140:143]// 00000000795C: D3D7008C 0E33951A
	v_mfma_i32_16x16x32_i8 v[140:143], a[28:29], v[204:205], v[140:143]// 000000007964: D3D7008C 0E33991C
	buffer_load_dword v33, s[20:23], 0 offen lds               // 00000000796C: E0511000 80050021
	s_add_u32 m0, 0, s50                                       // 000000007974: 807C3280
	v_mfma_i32_16x16x32_i8 v[140:143], a[30:31], v[206:207], v[140:143]// 000000007978: D3D7008C 0E339D1E
	s_waitcnt vmcnt(28)                                        // 000000007980: BF8C4F7C
	v_mfma_i32_16x16x32_i8 v[144:147], a[32:33], v[176:177], v[144:147]// 000000007984: D3D70090 0E436120
	buffer_load_dwordx4 a[128:131], v36, s[92:95], 0 offen     // 00000000798C: E05C1000 80978024
	v_mfma_i32_16x16x32_i8 v[144:147], a[34:35], v[178:179], v[144:147]// 000000007994: D3D70090 0E436522
	v_mfma_i32_16x16x32_i8 v[144:147], a[36:37], v[180:181], v[144:147]// 00000000799C: D3D70090 0E436924
	v_mfma_i32_16x16x32_i8 v[144:147], a[38:39], v[182:183], v[144:147]// 0000000079A4: D3D70090 0E436D26
	v_mfma_i32_16x16x32_i8 v[144:147], a[40:41], v[184:185], v[144:147]// 0000000079AC: D3D70090 0E437128
	buffer_load_dwordx4 a[132:135], v36, s[92:95], 0 offen offset:1024// 0000000079B4: E05C1400 80978424
	v_mfma_i32_16x16x32_i8 v[144:147], a[42:43], v[186:187], v[144:147]// 0000000079BC: D3D70090 0E43752A
	v_mfma_i32_16x16x32_i8 v[144:147], a[44:45], v[188:189], v[144:147]// 0000000079C4: D3D70090 0E43792C
	v_mfma_i32_16x16x32_i8 v[144:147], a[46:47], v[190:191], v[144:147]// 0000000079CC: D3D70090 0E437D2E
	v_mfma_i32_16x16x32_i8 v[148:151], a[32:33], v[192:193], v[148:151]// 0000000079D4: D3D70094 0E538120
	buffer_load_dwordx4 a[136:139], v36, s[92:95], 0 offen offset:2048// 0000000079DC: E05C1800 80978824
	v_mfma_i32_16x16x32_i8 v[148:151], a[34:35], v[194:195], v[148:151]// 0000000079E4: D3D70094 0E538522
	v_mfma_i32_16x16x32_i8 v[148:151], a[36:37], v[196:197], v[148:151]// 0000000079EC: D3D70094 0E538924
	v_mfma_i32_16x16x32_i8 v[148:151], a[38:39], v[198:199], v[148:151]// 0000000079F4: D3D70094 0E538D26
	v_mfma_i32_16x16x32_i8 v[148:151], a[40:41], v[200:201], v[148:151]// 0000000079FC: D3D70094 0E539128
	buffer_load_dwordx4 a[140:143], v36, s[92:95], 0 offen offset:3072// 000000007A04: E05C1C00 80978C24
	v_mfma_i32_16x16x32_i8 v[148:151], a[42:43], v[202:203], v[148:151]// 000000007A0C: D3D70094 0E53952A
	v_mfma_i32_16x16x32_i8 v[148:151], a[44:45], v[204:205], v[148:151]// 000000007A14: D3D70094 0E53992C
	v_mfma_i32_16x16x32_i8 v[148:151], a[46:47], v[206:207], v[148:151]// 000000007A1C: D3D70094 0E539D2E
	s_waitcnt vmcnt(28)                                        // 000000007A24: BF8C4F7C
	v_mfma_i32_16x16x32_i8 v[152:155], a[48:49], v[176:177], v[152:155]// 000000007A28: D3D70098 0E636130
	buffer_load_dwordx4 a[144:147], v37, s[92:95], 0 offen     // 000000007A30: E05C1000 80979025
	v_mfma_i32_16x16x32_i8 v[152:155], a[50:51], v[178:179], v[152:155]// 000000007A38: D3D70098 0E636532
	v_mfma_i32_16x16x32_i8 v[152:155], a[52:53], v[180:181], v[152:155]// 000000007A40: D3D70098 0E636934
	v_mfma_i32_16x16x32_i8 v[152:155], a[54:55], v[182:183], v[152:155]// 000000007A48: D3D70098 0E636D36
	v_mfma_i32_16x16x32_i8 v[152:155], a[56:57], v[184:185], v[152:155]// 000000007A50: D3D70098 0E637138
	buffer_load_dwordx4 a[148:151], v37, s[92:95], 0 offen offset:1024// 000000007A58: E05C1400 80979425
	v_mfma_i32_16x16x32_i8 v[152:155], a[58:59], v[186:187], v[152:155]// 000000007A60: D3D70098 0E63753A
	v_mfma_i32_16x16x32_i8 v[152:155], a[60:61], v[188:189], v[152:155]// 000000007A68: D3D70098 0E63793C
	v_mfma_i32_16x16x32_i8 v[152:155], a[62:63], v[190:191], v[152:155]// 000000007A70: D3D70098 0E637D3E
	v_mfma_i32_16x16x32_i8 v[156:159], a[48:49], v[192:193], v[156:159]// 000000007A78: D3D7009C 0E738130
	buffer_load_dwordx4 a[152:155], v37, s[92:95], 0 offen offset:2048// 000000007A80: E05C1800 80979825
	v_mfma_i32_16x16x32_i8 v[156:159], a[50:51], v[194:195], v[156:159]// 000000007A88: D3D7009C 0E738532
	v_mfma_i32_16x16x32_i8 v[156:159], a[52:53], v[196:197], v[156:159]// 000000007A90: D3D7009C 0E738934
	v_mfma_i32_16x16x32_i8 v[156:159], a[54:55], v[198:199], v[156:159]// 000000007A98: D3D7009C 0E738D36
	v_mfma_i32_16x16x32_i8 v[156:159], a[56:57], v[200:201], v[156:159]// 000000007AA0: D3D7009C 0E739138
	buffer_load_dwordx4 a[156:159], v37, s[92:95], 0 offen offset:3072// 000000007AA8: E05C1C00 80979C25
	v_mfma_i32_16x16x32_i8 v[156:159], a[58:59], v[202:203], v[156:159]// 000000007AB0: D3D7009C 0E73953A
	v_mfma_i32_16x16x32_i8 v[156:159], a[60:61], v[204:205], v[156:159]// 000000007AB8: D3D7009C 0E73993C
	v_mfma_i32_16x16x32_i8 v[156:159], a[62:63], v[206:207], v[156:159]// 000000007AC0: D3D7009C 0E739D3E
	s_waitcnt vmcnt(28)                                        // 000000007AC8: BF8C4F7C
	v_mfma_i32_16x16x32_i8 v[160:163], a[64:65], v[176:177], v[160:163]// 000000007ACC: D3D700A0 0E836140
	buffer_load_dwordx4 a[160:163], v38, s[92:95], 0 offen     // 000000007AD4: E05C1000 8097A026
	v_mfma_i32_16x16x32_i8 v[160:163], a[66:67], v[178:179], v[160:163]// 000000007ADC: D3D700A0 0E836542
	v_mfma_i32_16x16x32_i8 v[160:163], a[68:69], v[180:181], v[160:163]// 000000007AE4: D3D700A0 0E836944
	v_mfma_i32_16x16x32_i8 v[160:163], a[70:71], v[182:183], v[160:163]// 000000007AEC: D3D700A0 0E836D46
	v_mfma_i32_16x16x32_i8 v[160:163], a[72:73], v[184:185], v[160:163]// 000000007AF4: D3D700A0 0E837148
	buffer_load_dwordx4 a[164:167], v38, s[92:95], 0 offen offset:1024// 000000007AFC: E05C1400 8097A426
	v_mfma_i32_16x16x32_i8 v[160:163], a[74:75], v[186:187], v[160:163]// 000000007B04: D3D700A0 0E83754A
	v_mfma_i32_16x16x32_i8 v[160:163], a[76:77], v[188:189], v[160:163]// 000000007B0C: D3D700A0 0E83794C
	v_mfma_i32_16x16x32_i8 v[160:163], a[78:79], v[190:191], v[160:163]// 000000007B14: D3D700A0 0E837D4E
	v_mfma_i32_16x16x32_i8 v[164:167], a[64:65], v[192:193], v[164:167]// 000000007B1C: D3D700A4 0E938140
	buffer_load_dwordx4 a[168:171], v38, s[92:95], 0 offen offset:2048// 000000007B24: E05C1800 8097A826
	v_mfma_i32_16x16x32_i8 v[164:167], a[66:67], v[194:195], v[164:167]// 000000007B2C: D3D700A4 0E938542
	v_mfma_i32_16x16x32_i8 v[164:167], a[68:69], v[196:197], v[164:167]// 000000007B34: D3D700A4 0E938944
	v_mfma_i32_16x16x32_i8 v[164:167], a[70:71], v[198:199], v[164:167]// 000000007B3C: D3D700A4 0E938D46
	v_mfma_i32_16x16x32_i8 v[164:167], a[72:73], v[200:201], v[164:167]// 000000007B44: D3D700A4 0E939148
	buffer_load_dwordx4 a[172:175], v38, s[92:95], 0 offen offset:3072// 000000007B4C: E05C1C00 8097AC26
	v_mfma_i32_16x16x32_i8 v[164:167], a[74:75], v[202:203], v[164:167]// 000000007B54: D3D700A4 0E93954A
	v_mfma_i32_16x16x32_i8 v[164:167], a[76:77], v[204:205], v[164:167]// 000000007B5C: D3D700A4 0E93994C
	v_mfma_i32_16x16x32_i8 v[164:167], a[78:79], v[206:207], v[164:167]// 000000007B64: D3D700A4 0E939D4E
	s_waitcnt vmcnt(28)                                        // 000000007B6C: BF8C4F7C
	v_mfma_i32_16x16x32_i8 v[168:171], a[80:81], v[176:177], v[168:171]// 000000007B70: D3D700A8 0EA36150
	buffer_load_dwordx4 a[176:179], v39, s[92:95], 0 offen     // 000000007B78: E05C1000 8097B027
	v_mfma_i32_16x16x32_i8 v[168:171], a[82:83], v[178:179], v[168:171]// 000000007B80: D3D700A8 0EA36552
	v_mfma_i32_16x16x32_i8 v[168:171], a[84:85], v[180:181], v[168:171]// 000000007B88: D3D700A8 0EA36954
	v_mfma_i32_16x16x32_i8 v[168:171], a[86:87], v[182:183], v[168:171]// 000000007B90: D3D700A8 0EA36D56
	v_mfma_i32_16x16x32_i8 v[168:171], a[88:89], v[184:185], v[168:171]// 000000007B98: D3D700A8 0EA37158
	buffer_load_dwordx4 a[180:183], v39, s[92:95], 0 offen offset:1024// 000000007BA0: E05C1400 8097B427
	v_mfma_i32_16x16x32_i8 v[168:171], a[90:91], v[186:187], v[168:171]// 000000007BA8: D3D700A8 0EA3755A
	v_mfma_i32_16x16x32_i8 v[168:171], a[92:93], v[188:189], v[168:171]// 000000007BB0: D3D700A8 0EA3795C
	v_mfma_i32_16x16x32_i8 v[168:171], a[94:95], v[190:191], v[168:171]// 000000007BB8: D3D700A8 0EA37D5E
	v_mfma_i32_16x16x32_i8 v[172:175], a[80:81], v[192:193], v[172:175]// 000000007BC0: D3D700AC 0EB38150
	buffer_load_dwordx4 a[184:187], v39, s[92:95], 0 offen offset:2048// 000000007BC8: E05C1800 8097B827
	v_mfma_i32_16x16x32_i8 v[172:175], a[82:83], v[194:195], v[172:175]// 000000007BD0: D3D700AC 0EB38552
	v_mfma_i32_16x16x32_i8 v[172:175], a[84:85], v[196:197], v[172:175]// 000000007BD8: D3D700AC 0EB38954
	v_mfma_i32_16x16x32_i8 v[172:175], a[86:87], v[198:199], v[172:175]// 000000007BE0: D3D700AC 0EB38D56
	v_mfma_i32_16x16x32_i8 v[172:175], a[88:89], v[200:201], v[172:175]// 000000007BE8: D3D700AC 0EB39158
	buffer_load_dwordx4 a[188:191], v39, s[92:95], 0 offen offset:3072// 000000007BF0: E05C1C00 8097BC27
	v_mfma_i32_16x16x32_i8 v[172:175], a[90:91], v[202:203], v[172:175]// 000000007BF8: D3D700AC 0EB3955A
	v_mfma_i32_16x16x32_i8 v[172:175], a[92:93], v[204:205], v[172:175]// 000000007C00: D3D700AC 0EB3995C
	v_mfma_i32_16x16x32_i8 v[172:175], a[94:95], v[206:207], v[172:175]// 000000007C08: D3D700AC 0EB39D5E
	s_waitcnt vmcnt(16)                                        // 000000007C10: BF8C4F70
	s_barrier                                                  // 000000007C14: BF8A0000
	v_mfma_i32_16x16x32_i8 v[64:67], a[96:97], v[176:177], v[64:67]// 000000007C18: D3D70040 0D036160
	buffer_load_dwordx4 a[0:3], v34, s[24:27], 0 offen         // 000000007C20: E05C1000 80860022
	v_mfma_i32_16x16x32_i8 v[64:67], a[98:99], v[178:179], v[64:67]// 000000007C28: D3D70040 0D036562
	v_mfma_i32_16x16x32_i8 v[64:67], a[100:101], v[180:181], v[64:67]// 000000007C30: D3D70040 0D036964
	v_mfma_i32_16x16x32_i8 v[64:67], a[102:103], v[182:183], v[64:67]// 000000007C38: D3D70040 0D036D66
	v_mfma_i32_16x16x32_i8 v[64:67], a[104:105], v[184:185], v[64:67]// 000000007C40: D3D70040 0D037168
	buffer_load_dwordx4 a[4:7], v34, s[24:27], 0 offen offset:1024// 000000007C48: E05C1400 80860422
	v_mfma_i32_16x16x32_i8 v[64:67], a[106:107], v[186:187], v[64:67]// 000000007C50: D3D70040 0D03756A
	v_mfma_i32_16x16x32_i8 v[64:67], a[108:109], v[188:189], v[64:67]// 000000007C58: D3D70040 0D03796C
	v_mfma_i32_16x16x32_i8 v[64:67], a[110:111], v[190:191], v[64:67]// 000000007C60: D3D70040 0D037D6E
	v_mfma_i32_16x16x32_i8 v[68:71], a[96:97], v[192:193], v[68:71]// 000000007C68: D3D70044 0D138160
	buffer_load_dwordx4 a[8:11], v34, s[24:27], 0 offen offset:2048// 000000007C70: E05C1800 80860822
	v_mfma_i32_16x16x32_i8 v[68:71], a[98:99], v[194:195], v[68:71]// 000000007C78: D3D70044 0D138562
	v_mfma_i32_16x16x32_i8 v[68:71], a[100:101], v[196:197], v[68:71]// 000000007C80: D3D70044 0D138964
	v_mfma_i32_16x16x32_i8 v[68:71], a[102:103], v[198:199], v[68:71]// 000000007C88: D3D70044 0D138D66
	v_mfma_i32_16x16x32_i8 v[68:71], a[104:105], v[200:201], v[68:71]// 000000007C90: D3D70044 0D139168
	buffer_load_dwordx4 a[12:15], v34, s[24:27], 0 offen offset:3072// 000000007C98: E05C1C00 80860C22
	v_mfma_i32_16x16x32_i8 v[68:71], a[106:107], v[202:203], v[68:71]// 000000007CA0: D3D70044 0D13956A
	v_mfma_i32_16x16x32_i8 v[68:71], a[108:109], v[204:205], v[68:71]// 000000007CA8: D3D70044 0D13996C
	v_mfma_i32_16x16x32_i8 v[68:71], a[110:111], v[206:207], v[68:71]// 000000007CB0: D3D70044 0D139D6E
	v_mfma_i32_16x16x32_i8 v[72:75], a[112:113], v[176:177], v[72:75]// 000000007CB8: D3D70048 0D236170
	buffer_load_dwordx4 a[16:19], v35, s[24:27], 0 offen       // 000000007CC0: E05C1000 80861023
	v_mfma_i32_16x16x32_i8 v[72:75], a[114:115], v[178:179], v[72:75]// 000000007CC8: D3D70048 0D236572
	v_mfma_i32_16x16x32_i8 v[72:75], a[116:117], v[180:181], v[72:75]// 000000007CD0: D3D70048 0D236974
	v_mfma_i32_16x16x32_i8 v[72:75], a[118:119], v[182:183], v[72:75]// 000000007CD8: D3D70048 0D236D76
	v_mfma_i32_16x16x32_i8 v[72:75], a[120:121], v[184:185], v[72:75]// 000000007CE0: D3D70048 0D237178
	buffer_load_dwordx4 a[20:23], v35, s[24:27], 0 offen offset:1024// 000000007CE8: E05C1400 80861423
	v_mfma_i32_16x16x32_i8 v[72:75], a[122:123], v[186:187], v[72:75]// 000000007CF0: D3D70048 0D23757A
	v_mfma_i32_16x16x32_i8 v[72:75], a[124:125], v[188:189], v[72:75]// 000000007CF8: D3D70048 0D23797C
	v_mfma_i32_16x16x32_i8 v[72:75], a[126:127], v[190:191], v[72:75]// 000000007D00: D3D70048 0D237D7E
	v_mfma_i32_16x16x32_i8 v[76:79], a[112:113], v[192:193], v[76:79]// 000000007D08: D3D7004C 0D338170
	buffer_load_dwordx4 a[24:27], v35, s[24:27], 0 offen offset:2048// 000000007D10: E05C1800 80861823
	v_mfma_i32_16x16x32_i8 v[76:79], a[114:115], v[194:195], v[76:79]// 000000007D18: D3D7004C 0D338572
	v_mfma_i32_16x16x32_i8 v[76:79], a[116:117], v[196:197], v[76:79]// 000000007D20: D3D7004C 0D338974
	v_mfma_i32_16x16x32_i8 v[76:79], a[118:119], v[198:199], v[76:79]// 000000007D28: D3D7004C 0D338D76
	v_mfma_i32_16x16x32_i8 v[76:79], a[120:121], v[200:201], v[76:79]// 000000007D30: D3D7004C 0D339178
	buffer_load_dwordx4 a[28:31], v35, s[24:27], 0 offen offset:3072// 000000007D38: E05C1C00 80861C23
	v_mfma_i32_16x16x32_i8 v[76:79], a[122:123], v[202:203], v[76:79]// 000000007D40: D3D7004C 0D33957A
	v_mfma_i32_16x16x32_i8 v[76:79], a[124:125], v[204:205], v[76:79]// 000000007D48: D3D7004C 0D33997C
	v_mfma_i32_16x16x32_i8 v[76:79], a[126:127], v[206:207], v[76:79]// 000000007D50: D3D7004C 0D339D7E
	s_waitcnt vmcnt(20)                                        // 000000007D58: BF8C4F74
	v_mfma_i32_16x16x32_i8 v[80:83], a[128:129], v[176:177], v[80:83]// 000000007D5C: D3D70050 0D436180
	buffer_load_dwordx4 a[32:35], v36, s[24:27], 0 offen       // 000000007D64: E05C1000 80862024
	v_mfma_i32_16x16x32_i8 v[80:83], a[130:131], v[178:179], v[80:83]// 000000007D6C: D3D70050 0D436582
	v_mfma_i32_16x16x32_i8 v[80:83], a[132:133], v[180:181], v[80:83]// 000000007D74: D3D70050 0D436984
	ds_read_b128 v[208:211], v2 offset:8320                    // 000000007D7C: D9FE2080 D0000002
	v_mfma_i32_16x16x32_i8 v[80:83], a[134:135], v[182:183], v[80:83]// 000000007D84: D3D70050 0D436D86
	v_mfma_i32_16x16x32_i8 v[80:83], a[136:137], v[184:185], v[80:83]// 000000007D8C: D3D70050 0D437188
	buffer_load_dwordx4 a[36:39], v36, s[24:27], 0 offen offset:1024// 000000007D94: E05C1400 80862424
	v_mfma_i32_16x16x32_i8 v[80:83], a[138:139], v[186:187], v[80:83]// 000000007D9C: D3D70050 0D43758A
	v_mfma_i32_16x16x32_i8 v[80:83], a[140:141], v[188:189], v[80:83]// 000000007DA4: D3D70050 0D43798C
	ds_read_b128 v[212:215], v2 offset:8384                    // 000000007DAC: D9FE20C0 D4000002
	v_mfma_i32_16x16x32_i8 v[80:83], a[142:143], v[190:191], v[80:83]// 000000007DB4: D3D70050 0D437D8E
	v_mfma_i32_16x16x32_i8 v[84:87], a[128:129], v[192:193], v[84:87]// 000000007DBC: D3D70054 0D538180
	buffer_load_dwordx4 a[40:43], v36, s[24:27], 0 offen offset:2048// 000000007DC4: E05C1800 80862824
	v_mfma_i32_16x16x32_i8 v[84:87], a[130:131], v[194:195], v[84:87]// 000000007DCC: D3D70054 0D538582
	v_mfma_i32_16x16x32_i8 v[84:87], a[132:133], v[196:197], v[84:87]// 000000007DD4: D3D70054 0D538984
	ds_read_b128 v[216:219], v2 offset:8448                    // 000000007DDC: D9FE2100 D8000002
	v_mfma_i32_16x16x32_i8 v[84:87], a[134:135], v[198:199], v[84:87]// 000000007DE4: D3D70054 0D538D86
	v_mfma_i32_16x16x32_i8 v[84:87], a[136:137], v[200:201], v[84:87]// 000000007DEC: D3D70054 0D539188
	buffer_load_dwordx4 a[44:47], v36, s[24:27], 0 offen offset:3072// 000000007DF4: E05C1C00 80862C24
	v_mfma_i32_16x16x32_i8 v[84:87], a[138:139], v[202:203], v[84:87]// 000000007DFC: D3D70054 0D53958A
	v_mfma_i32_16x16x32_i8 v[84:87], a[140:141], v[204:205], v[84:87]// 000000007E04: D3D70054 0D53998C
	ds_read_b128 v[220:223], v2 offset:8512                    // 000000007E0C: D9FE2140 DC000002
	v_mfma_i32_16x16x32_i8 v[84:87], a[142:143], v[206:207], v[84:87]// 000000007E14: D3D70054 0D539D8E
	s_waitcnt vmcnt(20)                                        // 000000007E1C: BF8C4F74
	v_mfma_i32_16x16x32_i8 v[88:91], a[144:145], v[176:177], v[88:91]// 000000007E20: D3D70058 0D636190
	buffer_load_dwordx4 a[48:51], v37, s[24:27], 0 offen       // 000000007E28: E05C1000 80863025
	v_mfma_i32_16x16x32_i8 v[88:91], a[146:147], v[178:179], v[88:91]// 000000007E30: D3D70058 0D636592
	v_mfma_i32_16x16x32_i8 v[88:91], a[148:149], v[180:181], v[88:91]// 000000007E38: D3D70058 0D636994
	ds_read_b128 v[224:227], v2 offset:9344                    // 000000007E40: D9FE2480 E0000002
	v_mfma_i32_16x16x32_i8 v[88:91], a[150:151], v[182:183], v[88:91]// 000000007E48: D3D70058 0D636D96
	v_mfma_i32_16x16x32_i8 v[88:91], a[152:153], v[184:185], v[88:91]// 000000007E50: D3D70058 0D637198
	buffer_load_dwordx4 a[52:55], v37, s[24:27], 0 offen offset:1024// 000000007E58: E05C1400 80863425
	v_mfma_i32_16x16x32_i8 v[88:91], a[154:155], v[186:187], v[88:91]// 000000007E60: D3D70058 0D63759A
	v_mfma_i32_16x16x32_i8 v[88:91], a[156:157], v[188:189], v[88:91]// 000000007E68: D3D70058 0D63799C
	ds_read_b128 v[228:231], v2 offset:9408                    // 000000007E70: D9FE24C0 E4000002
	v_mfma_i32_16x16x32_i8 v[88:91], a[158:159], v[190:191], v[88:91]// 000000007E78: D3D70058 0D637D9E
	v_mfma_i32_16x16x32_i8 v[92:95], a[144:145], v[192:193], v[92:95]// 000000007E80: D3D7005C 0D738190
	buffer_load_dwordx4 a[56:59], v37, s[24:27], 0 offen offset:2048// 000000007E88: E05C1800 80863825
	v_mfma_i32_16x16x32_i8 v[92:95], a[146:147], v[194:195], v[92:95]// 000000007E90: D3D7005C 0D738592
	v_mfma_i32_16x16x32_i8 v[92:95], a[148:149], v[196:197], v[92:95]// 000000007E98: D3D7005C 0D738994
	ds_read_b128 v[232:235], v2 offset:9472                    // 000000007EA0: D9FE2500 E8000002
	v_mfma_i32_16x16x32_i8 v[92:95], a[150:151], v[198:199], v[92:95]// 000000007EA8: D3D7005C 0D738D96
	v_mfma_i32_16x16x32_i8 v[92:95], a[152:153], v[200:201], v[92:95]// 000000007EB0: D3D7005C 0D739198
	buffer_load_dwordx4 a[60:63], v37, s[24:27], 0 offen offset:3072// 000000007EB8: E05C1C00 80863C25
	v_mfma_i32_16x16x32_i8 v[92:95], a[154:155], v[202:203], v[92:95]// 000000007EC0: D3D7005C 0D73959A
	v_mfma_i32_16x16x32_i8 v[92:95], a[156:157], v[204:205], v[92:95]// 000000007EC8: D3D7005C 0D73999C
	ds_read_b128 v[236:239], v2 offset:9536                    // 000000007ED0: D9FE2540 EC000002
	v_mfma_i32_16x16x32_i8 v[92:95], a[158:159], v[206:207], v[92:95]// 000000007ED8: D3D7005C 0D739D9E
	s_waitcnt vmcnt(20)                                        // 000000007EE0: BF8C4F74
	v_mfma_i32_16x16x32_i8 v[96:99], a[160:161], v[176:177], v[96:99]// 000000007EE4: D3D70060 0D8361A0
	buffer_load_dwordx4 a[64:67], v38, s[24:27], 0 offen       // 000000007EEC: E05C1000 80864026
	v_mfma_i32_16x16x32_i8 v[96:99], a[162:163], v[178:179], v[96:99]// 000000007EF4: D3D70060 0D8365A2
	v_mfma_i32_16x16x32_i8 v[96:99], a[164:165], v[180:181], v[96:99]// 000000007EFC: D3D70060 0D8369A4
	v_mfma_i32_16x16x32_i8 v[96:99], a[166:167], v[182:183], v[96:99]// 000000007F04: D3D70060 0D836DA6
	v_mfma_i32_16x16x32_i8 v[96:99], a[168:169], v[184:185], v[96:99]// 000000007F0C: D3D70060 0D8371A8
	buffer_load_dwordx4 a[68:71], v38, s[24:27], 0 offen offset:1024// 000000007F14: E05C1400 80864426
	v_mfma_i32_16x16x32_i8 v[96:99], a[170:171], v[186:187], v[96:99]// 000000007F1C: D3D70060 0D8375AA
	v_mfma_i32_16x16x32_i8 v[96:99], a[172:173], v[188:189], v[96:99]// 000000007F24: D3D70060 0D8379AC
	v_mfma_i32_16x16x32_i8 v[96:99], a[174:175], v[190:191], v[96:99]// 000000007F2C: D3D70060 0D837DAE
	v_mfma_i32_16x16x32_i8 v[100:103], a[160:161], v[192:193], v[100:103]// 000000007F34: D3D70064 0D9381A0
	buffer_load_dwordx4 a[72:75], v38, s[24:27], 0 offen offset:2048// 000000007F3C: E05C1800 80864826
	v_mfma_i32_16x16x32_i8 v[100:103], a[162:163], v[194:195], v[100:103]// 000000007F44: D3D70064 0D9385A2
	v_mfma_i32_16x16x32_i8 v[100:103], a[164:165], v[196:197], v[100:103]// 000000007F4C: D3D70064 0D9389A4
	v_mfma_i32_16x16x32_i8 v[100:103], a[166:167], v[198:199], v[100:103]// 000000007F54: D3D70064 0D938DA6
	v_mfma_i32_16x16x32_i8 v[100:103], a[168:169], v[200:201], v[100:103]// 000000007F5C: D3D70064 0D9391A8
	buffer_load_dwordx4 a[76:79], v38, s[24:27], 0 offen offset:3072// 000000007F64: E05C1C00 80864C26
	v_mfma_i32_16x16x32_i8 v[100:103], a[170:171], v[202:203], v[100:103]// 000000007F6C: D3D70064 0D9395AA
	v_mfma_i32_16x16x32_i8 v[100:103], a[172:173], v[204:205], v[100:103]// 000000007F74: D3D70064 0D9399AC
	v_mfma_i32_16x16x32_i8 v[100:103], a[174:175], v[206:207], v[100:103]// 000000007F7C: D3D70064 0D939DAE
	s_waitcnt vmcnt(20)                                        // 000000007F84: BF8C4F74
	v_mfma_i32_16x16x32_i8 v[104:107], a[176:177], v[176:177], v[104:107]// 000000007F88: D3D70068 0DA361B0
	buffer_load_dwordx4 a[80:83], v39, s[24:27], 0 offen       // 000000007F90: E05C1000 80865027
	v_mfma_i32_16x16x32_i8 v[104:107], a[178:179], v[178:179], v[104:107]// 000000007F98: D3D70068 0DA365B2
	v_mfma_i32_16x16x32_i8 v[104:107], a[180:181], v[180:181], v[104:107]// 000000007FA0: D3D70068 0DA369B4
	v_mfma_i32_16x16x32_i8 v[104:107], a[182:183], v[182:183], v[104:107]// 000000007FA8: D3D70068 0DA36DB6
	v_mfma_i32_16x16x32_i8 v[104:107], a[184:185], v[184:185], v[104:107]// 000000007FB0: D3D70068 0DA371B8
	buffer_load_dwordx4 a[84:87], v39, s[24:27], 0 offen offset:1024// 000000007FB8: E05C1400 80865427
	v_mfma_i32_16x16x32_i8 v[104:107], a[186:187], v[186:187], v[104:107]// 000000007FC0: D3D70068 0DA375BA
	v_mfma_i32_16x16x32_i8 v[104:107], a[188:189], v[188:189], v[104:107]// 000000007FC8: D3D70068 0DA379BC
	v_mfma_i32_16x16x32_i8 v[104:107], a[190:191], v[190:191], v[104:107]// 000000007FD0: D3D70068 0DA37DBE
	v_mfma_i32_16x16x32_i8 v[108:111], a[176:177], v[192:193], v[108:111]// 000000007FD8: D3D7006C 0DB381B0
	buffer_load_dwordx4 a[88:91], v39, s[24:27], 0 offen offset:2048// 000000007FE0: E05C1800 80865827
	v_mfma_i32_16x16x32_i8 v[108:111], a[178:179], v[194:195], v[108:111]// 000000007FE8: D3D7006C 0DB385B2
	v_mfma_i32_16x16x32_i8 v[108:111], a[180:181], v[196:197], v[108:111]// 000000007FF0: D3D7006C 0DB389B4
	v_mfma_i32_16x16x32_i8 v[108:111], a[182:183], v[198:199], v[108:111]// 000000007FF8: D3D7006C 0DB38DB6
	v_mfma_i32_16x16x32_i8 v[108:111], a[184:185], v[200:201], v[108:111]// 000000008000: D3D7006C 0DB391B8
	buffer_load_dwordx4 a[92:95], v39, s[24:27], 0 offen offset:3072// 000000008008: E05C1C00 80865C27
	v_mfma_i32_16x16x32_i8 v[108:111], a[186:187], v[202:203], v[108:111]// 000000008010: D3D7006C 0DB395BA
	v_mfma_i32_16x16x32_i8 v[108:111], a[188:189], v[204:205], v[108:111]// 000000008018: D3D7006C 0DB399BC
	v_mfma_i32_16x16x32_i8 v[108:111], a[190:191], v[206:207], v[108:111]// 000000008020: D3D7006C 0DB39DBE
	s_add_u32 s60, 0x200, s80                                  // 000000008028: 803C50FF 00000200
	s_cmp_lt_u32 s60, s81                                      // 000000008030: BF0A513C
	s_cselect_b32 s57, s57, 0                                  // 000000008034: 85398039
	s_add_u32 s60, 0x200, s80                                  // 000000008038: 803C50FF 00000200
	s_cmp_lt_u32 s60, s81                                      // 000000008040: BF0A513C
	s_cselect_b32 s58, s58, 0                                  // 000000008044: 853A803A
	s_add_u32 s20, s57, s20                                    // 000000008048: 80141439
	s_addc_u32 s21, 0, s21                                     // 00000000804C: 82151580
	s_add_u32 s24, s58, s24                                    // 000000008050: 8018183A
	s_addc_u32 s25, 0, s25                                     // 000000008054: 82191980
	s_add_u32 s92, s90, s92                                    // 000000008058: 805C5C5A
	s_addc_u32 s93, 0, s93                                     // 00000000805C: 825D5D80
	s_addk_i32 s80, 0x100                                      // 000000008060: B7500100
	s_cmp_lt_i32 s80, s81                                      // 000000008064: BF045150
	s_cbranch_scc0 label_16C8                                  // 000000008068: BF84022D
	s_waitcnt vmcnt(16) lgkmcnt(0)                             // 00000000806C: BF8C4070
	s_barrier                                                  // 000000008070: BF8A0000
	v_mfma_i32_16x16x32_i8 v[128:131], a[0:1], v[208:209], v[128:131]// 000000008074: D3D70080 0E03A100
	buffer_load_dwordx4 a[96:99], v34, s[92:95], 0 offen       // 00000000807C: E05C1000 80976022
	v_mfma_i32_16x16x32_i8 v[128:131], a[2:3], v[210:211], v[128:131]// 000000008084: D3D70080 0E03A502
	v_mfma_i32_16x16x32_i8 v[128:131], a[4:5], v[212:213], v[128:131]// 00000000808C: D3D70080 0E03A904
	buffer_load_dword v26, s[20:23], 0 offen lds               // 000000008094: E0511000 8005001A
	s_add_u32 m0, 0x100, s50                                   // 00000000809C: 807C32FF 00000100
	v_mfma_i32_16x16x32_i8 v[128:131], a[6:7], v[214:215], v[128:131]// 0000000080A4: D3D70080 0E03AD06
	v_mfma_i32_16x16x32_i8 v[128:131], a[8:9], v[216:217], v[128:131]// 0000000080AC: D3D70080 0E03B108
	buffer_load_dwordx4 a[100:103], v34, s[92:95], 0 offen offset:1024// 0000000080B4: E05C1400 80976422
	v_mfma_i32_16x16x32_i8 v[128:131], a[10:11], v[218:219], v[128:131]// 0000000080BC: D3D70080 0E03B50A
	v_mfma_i32_16x16x32_i8 v[128:131], a[12:13], v[220:221], v[128:131]// 0000000080C4: D3D70080 0E03B90C
	buffer_load_dword v27, s[20:23], 0 offen lds               // 0000000080CC: E0511000 8005001B
	s_add_u32 m0, 0x200, s50                                   // 0000000080D4: 807C32FF 00000200
	v_mfma_i32_16x16x32_i8 v[128:131], a[14:15], v[222:223], v[128:131]// 0000000080DC: D3D70080 0E03BD0E
	v_mfma_i32_16x16x32_i8 v[132:135], a[0:1], v[224:225], v[132:135]// 0000000080E4: D3D70084 0E13C100
	buffer_load_dwordx4 a[104:107], v34, s[92:95], 0 offen offset:2048// 0000000080EC: E05C1800 80976822
	v_mfma_i32_16x16x32_i8 v[132:135], a[2:3], v[226:227], v[132:135]// 0000000080F4: D3D70084 0E13C502
	v_mfma_i32_16x16x32_i8 v[132:135], a[4:5], v[228:229], v[132:135]// 0000000080FC: D3D70084 0E13C904
	buffer_load_dword v28, s[20:23], 0 offen lds               // 000000008104: E0511000 8005001C
	s_add_u32 m0, 0x300, s50                                   // 00000000810C: 807C32FF 00000300
	v_mfma_i32_16x16x32_i8 v[132:135], a[6:7], v[230:231], v[132:135]// 000000008114: D3D70084 0E13CD06
	v_mfma_i32_16x16x32_i8 v[132:135], a[8:9], v[232:233], v[132:135]// 00000000811C: D3D70084 0E13D108
	buffer_load_dwordx4 a[108:111], v34, s[92:95], 0 offen offset:3072// 000000008124: E05C1C00 80976C22
	v_mfma_i32_16x16x32_i8 v[132:135], a[10:11], v[234:235], v[132:135]// 00000000812C: D3D70084 0E13D50A
	v_mfma_i32_16x16x32_i8 v[132:135], a[12:13], v[236:237], v[132:135]// 000000008134: D3D70084 0E13D90C
	buffer_load_dword v29, s[20:23], 0 offen lds               // 00000000813C: E0511000 8005001D
	s_add_u32 m0, 0x400, s50                                   // 000000008144: 807C32FF 00000400
	v_mfma_i32_16x16x32_i8 v[132:135], a[14:15], v[238:239], v[132:135]// 00000000814C: D3D70084 0E13DD0E
	v_mfma_i32_16x16x32_i8 v[136:139], a[16:17], v[208:209], v[136:139]// 000000008154: D3D70088 0E23A110
	buffer_load_dwordx4 a[112:115], v35, s[92:95], 0 offen     // 00000000815C: E05C1000 80977023
	v_mfma_i32_16x16x32_i8 v[136:139], a[18:19], v[210:211], v[136:139]// 000000008164: D3D70088 0E23A512
	v_mfma_i32_16x16x32_i8 v[136:139], a[20:21], v[212:213], v[136:139]// 00000000816C: D3D70088 0E23A914
	buffer_load_dword v30, s[20:23], 0 offen lds               // 000000008174: E0511000 8005001E
	s_add_u32 m0, 0x500, s50                                   // 00000000817C: 807C32FF 00000500
	v_mfma_i32_16x16x32_i8 v[136:139], a[22:23], v[214:215], v[136:139]// 000000008184: D3D70088 0E23AD16
	v_mfma_i32_16x16x32_i8 v[136:139], a[24:25], v[216:217], v[136:139]// 00000000818C: D3D70088 0E23B118
	buffer_load_dwordx4 a[116:119], v35, s[92:95], 0 offen offset:1024// 000000008194: E05C1400 80977423
	v_mfma_i32_16x16x32_i8 v[136:139], a[26:27], v[218:219], v[136:139]// 00000000819C: D3D70088 0E23B51A
	v_mfma_i32_16x16x32_i8 v[136:139], a[28:29], v[220:221], v[136:139]// 0000000081A4: D3D70088 0E23B91C
	buffer_load_dword v31, s[20:23], 0 offen lds               // 0000000081AC: E0511000 8005001F
	s_add_u32 m0, 0x600, s50                                   // 0000000081B4: 807C32FF 00000600
	v_mfma_i32_16x16x32_i8 v[136:139], a[30:31], v[222:223], v[136:139]// 0000000081BC: D3D70088 0E23BD1E
	v_mfma_i32_16x16x32_i8 v[140:143], a[16:17], v[224:225], v[140:143]// 0000000081C4: D3D7008C 0E33C110
	buffer_load_dwordx4 a[120:123], v35, s[92:95], 0 offen offset:2048// 0000000081CC: E05C1800 80977823
	v_mfma_i32_16x16x32_i8 v[140:143], a[18:19], v[226:227], v[140:143]// 0000000081D4: D3D7008C 0E33C512
	v_mfma_i32_16x16x32_i8 v[140:143], a[20:21], v[228:229], v[140:143]// 0000000081DC: D3D7008C 0E33C914
	buffer_load_dword v32, s[20:23], 0 offen lds               // 0000000081E4: E0511000 80050020
	s_add_u32 m0, 0x700, s50                                   // 0000000081EC: 807C32FF 00000700
	v_mfma_i32_16x16x32_i8 v[140:143], a[22:23], v[230:231], v[140:143]// 0000000081F4: D3D7008C 0E33CD16
	v_mfma_i32_16x16x32_i8 v[140:143], a[24:25], v[232:233], v[140:143]// 0000000081FC: D3D7008C 0E33D118
	buffer_load_dwordx4 a[124:127], v35, s[92:95], 0 offen offset:3072// 000000008204: E05C1C00 80977C23
	v_mfma_i32_16x16x32_i8 v[140:143], a[26:27], v[234:235], v[140:143]// 00000000820C: D3D7008C 0E33D51A
	v_mfma_i32_16x16x32_i8 v[140:143], a[28:29], v[236:237], v[140:143]// 000000008214: D3D7008C 0E33D91C
	buffer_load_dword v33, s[20:23], 0 offen lds               // 00000000821C: E0511000 80050021
	s_add_u32 m0, 0, s51                                       // 000000008224: 807C3380
	v_mfma_i32_16x16x32_i8 v[140:143], a[30:31], v[238:239], v[140:143]// 000000008228: D3D7008C 0E33DD1E
	s_waitcnt vmcnt(28)                                        // 000000008230: BF8C4F7C
	v_mfma_i32_16x16x32_i8 v[144:147], a[32:33], v[208:209], v[144:147]// 000000008234: D3D70090 0E43A120
	buffer_load_dwordx4 a[128:131], v36, s[92:95], 0 offen     // 00000000823C: E05C1000 80978024
	v_mfma_i32_16x16x32_i8 v[144:147], a[34:35], v[210:211], v[144:147]// 000000008244: D3D70090 0E43A522
	v_mfma_i32_16x16x32_i8 v[144:147], a[36:37], v[212:213], v[144:147]// 00000000824C: D3D70090 0E43A924
	v_mfma_i32_16x16x32_i8 v[144:147], a[38:39], v[214:215], v[144:147]// 000000008254: D3D70090 0E43AD26
	v_mfma_i32_16x16x32_i8 v[144:147], a[40:41], v[216:217], v[144:147]// 00000000825C: D3D70090 0E43B128
	buffer_load_dwordx4 a[132:135], v36, s[92:95], 0 offen offset:1024// 000000008264: E05C1400 80978424
	v_mfma_i32_16x16x32_i8 v[144:147], a[42:43], v[218:219], v[144:147]// 00000000826C: D3D70090 0E43B52A
	v_mfma_i32_16x16x32_i8 v[144:147], a[44:45], v[220:221], v[144:147]// 000000008274: D3D70090 0E43B92C
	v_mfma_i32_16x16x32_i8 v[144:147], a[46:47], v[222:223], v[144:147]// 00000000827C: D3D70090 0E43BD2E
	v_mfma_i32_16x16x32_i8 v[148:151], a[32:33], v[224:225], v[148:151]// 000000008284: D3D70094 0E53C120
	buffer_load_dwordx4 a[136:139], v36, s[92:95], 0 offen offset:2048// 00000000828C: E05C1800 80978824
	v_mfma_i32_16x16x32_i8 v[148:151], a[34:35], v[226:227], v[148:151]// 000000008294: D3D70094 0E53C522
	v_mfma_i32_16x16x32_i8 v[148:151], a[36:37], v[228:229], v[148:151]// 00000000829C: D3D70094 0E53C924
	v_mfma_i32_16x16x32_i8 v[148:151], a[38:39], v[230:231], v[148:151]// 0000000082A4: D3D70094 0E53CD26
	v_mfma_i32_16x16x32_i8 v[148:151], a[40:41], v[232:233], v[148:151]// 0000000082AC: D3D70094 0E53D128
	buffer_load_dwordx4 a[140:143], v36, s[92:95], 0 offen offset:3072// 0000000082B4: E05C1C00 80978C24
	v_mfma_i32_16x16x32_i8 v[148:151], a[42:43], v[234:235], v[148:151]// 0000000082BC: D3D70094 0E53D52A
	v_mfma_i32_16x16x32_i8 v[148:151], a[44:45], v[236:237], v[148:151]// 0000000082C4: D3D70094 0E53D92C
	v_mfma_i32_16x16x32_i8 v[148:151], a[46:47], v[238:239], v[148:151]// 0000000082CC: D3D70094 0E53DD2E
	s_waitcnt vmcnt(28)                                        // 0000000082D4: BF8C4F7C
	v_mfma_i32_16x16x32_i8 v[152:155], a[48:49], v[208:209], v[152:155]// 0000000082D8: D3D70098 0E63A130
	buffer_load_dwordx4 a[144:147], v37, s[92:95], 0 offen     // 0000000082E0: E05C1000 80979025
	v_mfma_i32_16x16x32_i8 v[152:155], a[50:51], v[210:211], v[152:155]// 0000000082E8: D3D70098 0E63A532
	v_mfma_i32_16x16x32_i8 v[152:155], a[52:53], v[212:213], v[152:155]// 0000000082F0: D3D70098 0E63A934
	v_mfma_i32_16x16x32_i8 v[152:155], a[54:55], v[214:215], v[152:155]// 0000000082F8: D3D70098 0E63AD36
	v_mfma_i32_16x16x32_i8 v[152:155], a[56:57], v[216:217], v[152:155]// 000000008300: D3D70098 0E63B138
	buffer_load_dwordx4 a[148:151], v37, s[92:95], 0 offen offset:1024// 000000008308: E05C1400 80979425
	v_mfma_i32_16x16x32_i8 v[152:155], a[58:59], v[218:219], v[152:155]// 000000008310: D3D70098 0E63B53A
	v_mfma_i32_16x16x32_i8 v[152:155], a[60:61], v[220:221], v[152:155]// 000000008318: D3D70098 0E63B93C
	v_mfma_i32_16x16x32_i8 v[152:155], a[62:63], v[222:223], v[152:155]// 000000008320: D3D70098 0E63BD3E
	v_mfma_i32_16x16x32_i8 v[156:159], a[48:49], v[224:225], v[156:159]// 000000008328: D3D7009C 0E73C130
	buffer_load_dwordx4 a[152:155], v37, s[92:95], 0 offen offset:2048// 000000008330: E05C1800 80979825
	v_mfma_i32_16x16x32_i8 v[156:159], a[50:51], v[226:227], v[156:159]// 000000008338: D3D7009C 0E73C532
	v_mfma_i32_16x16x32_i8 v[156:159], a[52:53], v[228:229], v[156:159]// 000000008340: D3D7009C 0E73C934
	v_mfma_i32_16x16x32_i8 v[156:159], a[54:55], v[230:231], v[156:159]// 000000008348: D3D7009C 0E73CD36
	v_mfma_i32_16x16x32_i8 v[156:159], a[56:57], v[232:233], v[156:159]// 000000008350: D3D7009C 0E73D138
	buffer_load_dwordx4 a[156:159], v37, s[92:95], 0 offen offset:3072// 000000008358: E05C1C00 80979C25
	v_mfma_i32_16x16x32_i8 v[156:159], a[58:59], v[234:235], v[156:159]// 000000008360: D3D7009C 0E73D53A
	v_mfma_i32_16x16x32_i8 v[156:159], a[60:61], v[236:237], v[156:159]// 000000008368: D3D7009C 0E73D93C
	v_mfma_i32_16x16x32_i8 v[156:159], a[62:63], v[238:239], v[156:159]// 000000008370: D3D7009C 0E73DD3E
	s_waitcnt vmcnt(28)                                        // 000000008378: BF8C4F7C
	v_mfma_i32_16x16x32_i8 v[160:163], a[64:65], v[208:209], v[160:163]// 00000000837C: D3D700A0 0E83A140
	buffer_load_dwordx4 a[160:163], v38, s[92:95], 0 offen     // 000000008384: E05C1000 8097A026
	v_mfma_i32_16x16x32_i8 v[160:163], a[66:67], v[210:211], v[160:163]// 00000000838C: D3D700A0 0E83A542
	v_mfma_i32_16x16x32_i8 v[160:163], a[68:69], v[212:213], v[160:163]// 000000008394: D3D700A0 0E83A944
	v_mfma_i32_16x16x32_i8 v[160:163], a[70:71], v[214:215], v[160:163]// 00000000839C: D3D700A0 0E83AD46
	v_mfma_i32_16x16x32_i8 v[160:163], a[72:73], v[216:217], v[160:163]// 0000000083A4: D3D700A0 0E83B148
	buffer_load_dwordx4 a[164:167], v38, s[92:95], 0 offen offset:1024// 0000000083AC: E05C1400 8097A426
	v_mfma_i32_16x16x32_i8 v[160:163], a[74:75], v[218:219], v[160:163]// 0000000083B4: D3D700A0 0E83B54A
	v_mfma_i32_16x16x32_i8 v[160:163], a[76:77], v[220:221], v[160:163]// 0000000083BC: D3D700A0 0E83B94C
	v_mfma_i32_16x16x32_i8 v[160:163], a[78:79], v[222:223], v[160:163]// 0000000083C4: D3D700A0 0E83BD4E
	v_mfma_i32_16x16x32_i8 v[164:167], a[64:65], v[224:225], v[164:167]// 0000000083CC: D3D700A4 0E93C140
	buffer_load_dwordx4 a[168:171], v38, s[92:95], 0 offen offset:2048// 0000000083D4: E05C1800 8097A826
	v_mfma_i32_16x16x32_i8 v[164:167], a[66:67], v[226:227], v[164:167]// 0000000083DC: D3D700A4 0E93C542
	v_mfma_i32_16x16x32_i8 v[164:167], a[68:69], v[228:229], v[164:167]// 0000000083E4: D3D700A4 0E93C944
	v_mfma_i32_16x16x32_i8 v[164:167], a[70:71], v[230:231], v[164:167]// 0000000083EC: D3D700A4 0E93CD46
	v_mfma_i32_16x16x32_i8 v[164:167], a[72:73], v[232:233], v[164:167]// 0000000083F4: D3D700A4 0E93D148
	buffer_load_dwordx4 a[172:175], v38, s[92:95], 0 offen offset:3072// 0000000083FC: E05C1C00 8097AC26
	v_mfma_i32_16x16x32_i8 v[164:167], a[74:75], v[234:235], v[164:167]// 000000008404: D3D700A4 0E93D54A
	v_mfma_i32_16x16x32_i8 v[164:167], a[76:77], v[236:237], v[164:167]// 00000000840C: D3D700A4 0E93D94C
	v_mfma_i32_16x16x32_i8 v[164:167], a[78:79], v[238:239], v[164:167]// 000000008414: D3D700A4 0E93DD4E
	s_waitcnt vmcnt(28)                                        // 00000000841C: BF8C4F7C
	v_mfma_i32_16x16x32_i8 v[168:171], a[80:81], v[208:209], v[168:171]// 000000008420: D3D700A8 0EA3A150
	buffer_load_dwordx4 a[176:179], v39, s[92:95], 0 offen     // 000000008428: E05C1000 8097B027
	v_mfma_i32_16x16x32_i8 v[168:171], a[82:83], v[210:211], v[168:171]// 000000008430: D3D700A8 0EA3A552
	v_mfma_i32_16x16x32_i8 v[168:171], a[84:85], v[212:213], v[168:171]// 000000008438: D3D700A8 0EA3A954
	v_mfma_i32_16x16x32_i8 v[168:171], a[86:87], v[214:215], v[168:171]// 000000008440: D3D700A8 0EA3AD56
	v_mfma_i32_16x16x32_i8 v[168:171], a[88:89], v[216:217], v[168:171]// 000000008448: D3D700A8 0EA3B158
	buffer_load_dwordx4 a[180:183], v39, s[92:95], 0 offen offset:1024// 000000008450: E05C1400 8097B427
	v_mfma_i32_16x16x32_i8 v[168:171], a[90:91], v[218:219], v[168:171]// 000000008458: D3D700A8 0EA3B55A
	v_mfma_i32_16x16x32_i8 v[168:171], a[92:93], v[220:221], v[168:171]// 000000008460: D3D700A8 0EA3B95C
	v_mfma_i32_16x16x32_i8 v[168:171], a[94:95], v[222:223], v[168:171]// 000000008468: D3D700A8 0EA3BD5E
	v_mfma_i32_16x16x32_i8 v[172:175], a[80:81], v[224:225], v[172:175]// 000000008470: D3D700AC 0EB3C150
	buffer_load_dwordx4 a[184:187], v39, s[92:95], 0 offen offset:2048// 000000008478: E05C1800 8097B827
	v_mfma_i32_16x16x32_i8 v[172:175], a[82:83], v[226:227], v[172:175]// 000000008480: D3D700AC 0EB3C552
	v_mfma_i32_16x16x32_i8 v[172:175], a[84:85], v[228:229], v[172:175]// 000000008488: D3D700AC 0EB3C954
	v_mfma_i32_16x16x32_i8 v[172:175], a[86:87], v[230:231], v[172:175]// 000000008490: D3D700AC 0EB3CD56
	v_mfma_i32_16x16x32_i8 v[172:175], a[88:89], v[232:233], v[172:175]// 000000008498: D3D700AC 0EB3D158
	buffer_load_dwordx4 a[188:191], v39, s[92:95], 0 offen offset:3072// 0000000084A0: E05C1C00 8097BC27
	v_mfma_i32_16x16x32_i8 v[172:175], a[90:91], v[234:235], v[172:175]// 0000000084A8: D3D700AC 0EB3D55A
	v_mfma_i32_16x16x32_i8 v[172:175], a[92:93], v[236:237], v[172:175]// 0000000084B0: D3D700AC 0EB3D95C
	v_mfma_i32_16x16x32_i8 v[172:175], a[94:95], v[238:239], v[172:175]// 0000000084B8: D3D700AC 0EB3DD5E
	s_waitcnt vmcnt(16)                                        // 0000000084C0: BF8C4F70
	s_barrier                                                  // 0000000084C4: BF8A0000
	v_mfma_i32_16x16x32_i8 v[64:67], a[96:97], v[208:209], v[64:67]// 0000000084C8: D3D70040 0D03A160
	buffer_load_dwordx4 a[0:3], v34, s[24:27], 0 offen         // 0000000084D0: E05C1000 80860022
	v_mfma_i32_16x16x32_i8 v[64:67], a[98:99], v[210:211], v[64:67]// 0000000084D8: D3D70040 0D03A562
	v_mfma_i32_16x16x32_i8 v[64:67], a[100:101], v[212:213], v[64:67]// 0000000084E0: D3D70040 0D03A964
	v_mfma_i32_16x16x32_i8 v[64:67], a[102:103], v[214:215], v[64:67]// 0000000084E8: D3D70040 0D03AD66
	v_mfma_i32_16x16x32_i8 v[64:67], a[104:105], v[216:217], v[64:67]// 0000000084F0: D3D70040 0D03B168
	buffer_load_dwordx4 a[4:7], v34, s[24:27], 0 offen offset:1024// 0000000084F8: E05C1400 80860422
	v_mfma_i32_16x16x32_i8 v[64:67], a[106:107], v[218:219], v[64:67]// 000000008500: D3D70040 0D03B56A
	v_mfma_i32_16x16x32_i8 v[64:67], a[108:109], v[220:221], v[64:67]// 000000008508: D3D70040 0D03B96C
	v_mfma_i32_16x16x32_i8 v[64:67], a[110:111], v[222:223], v[64:67]// 000000008510: D3D70040 0D03BD6E
	v_mfma_i32_16x16x32_i8 v[68:71], a[96:97], v[224:225], v[68:71]// 000000008518: D3D70044 0D13C160
	buffer_load_dwordx4 a[8:11], v34, s[24:27], 0 offen offset:2048// 000000008520: E05C1800 80860822
	v_mfma_i32_16x16x32_i8 v[68:71], a[98:99], v[226:227], v[68:71]// 000000008528: D3D70044 0D13C562
	v_mfma_i32_16x16x32_i8 v[68:71], a[100:101], v[228:229], v[68:71]// 000000008530: D3D70044 0D13C964
	v_mfma_i32_16x16x32_i8 v[68:71], a[102:103], v[230:231], v[68:71]// 000000008538: D3D70044 0D13CD66
	v_mfma_i32_16x16x32_i8 v[68:71], a[104:105], v[232:233], v[68:71]// 000000008540: D3D70044 0D13D168
	buffer_load_dwordx4 a[12:15], v34, s[24:27], 0 offen offset:3072// 000000008548: E05C1C00 80860C22
	v_mfma_i32_16x16x32_i8 v[68:71], a[106:107], v[234:235], v[68:71]// 000000008550: D3D70044 0D13D56A
	v_mfma_i32_16x16x32_i8 v[68:71], a[108:109], v[236:237], v[68:71]// 000000008558: D3D70044 0D13D96C
	v_mfma_i32_16x16x32_i8 v[68:71], a[110:111], v[238:239], v[68:71]// 000000008560: D3D70044 0D13DD6E
	v_mfma_i32_16x16x32_i8 v[72:75], a[112:113], v[208:209], v[72:75]// 000000008568: D3D70048 0D23A170
	buffer_load_dwordx4 a[16:19], v35, s[24:27], 0 offen       // 000000008570: E05C1000 80861023
	v_mfma_i32_16x16x32_i8 v[72:75], a[114:115], v[210:211], v[72:75]// 000000008578: D3D70048 0D23A572
	v_mfma_i32_16x16x32_i8 v[72:75], a[116:117], v[212:213], v[72:75]// 000000008580: D3D70048 0D23A974
	v_mfma_i32_16x16x32_i8 v[72:75], a[118:119], v[214:215], v[72:75]// 000000008588: D3D70048 0D23AD76
	v_mfma_i32_16x16x32_i8 v[72:75], a[120:121], v[216:217], v[72:75]// 000000008590: D3D70048 0D23B178
	buffer_load_dwordx4 a[20:23], v35, s[24:27], 0 offen offset:1024// 000000008598: E05C1400 80861423
	v_mfma_i32_16x16x32_i8 v[72:75], a[122:123], v[218:219], v[72:75]// 0000000085A0: D3D70048 0D23B57A
	v_mfma_i32_16x16x32_i8 v[72:75], a[124:125], v[220:221], v[72:75]// 0000000085A8: D3D70048 0D23B97C
	v_mfma_i32_16x16x32_i8 v[72:75], a[126:127], v[222:223], v[72:75]// 0000000085B0: D3D70048 0D23BD7E
	v_mfma_i32_16x16x32_i8 v[76:79], a[112:113], v[224:225], v[76:79]// 0000000085B8: D3D7004C 0D33C170
	buffer_load_dwordx4 a[24:27], v35, s[24:27], 0 offen offset:2048// 0000000085C0: E05C1800 80861823
	v_mfma_i32_16x16x32_i8 v[76:79], a[114:115], v[226:227], v[76:79]// 0000000085C8: D3D7004C 0D33C572
	v_mfma_i32_16x16x32_i8 v[76:79], a[116:117], v[228:229], v[76:79]// 0000000085D0: D3D7004C 0D33C974
	v_mfma_i32_16x16x32_i8 v[76:79], a[118:119], v[230:231], v[76:79]// 0000000085D8: D3D7004C 0D33CD76
	v_mfma_i32_16x16x32_i8 v[76:79], a[120:121], v[232:233], v[76:79]// 0000000085E0: D3D7004C 0D33D178
	buffer_load_dwordx4 a[28:31], v35, s[24:27], 0 offen offset:3072// 0000000085E8: E05C1C00 80861C23
	v_mfma_i32_16x16x32_i8 v[76:79], a[122:123], v[234:235], v[76:79]// 0000000085F0: D3D7004C 0D33D57A
	v_mfma_i32_16x16x32_i8 v[76:79], a[124:125], v[236:237], v[76:79]// 0000000085F8: D3D7004C 0D33D97C
	v_mfma_i32_16x16x32_i8 v[76:79], a[126:127], v[238:239], v[76:79]// 000000008600: D3D7004C 0D33DD7E
	s_waitcnt vmcnt(20)                                        // 000000008608: BF8C4F74
	v_mfma_i32_16x16x32_i8 v[80:83], a[128:129], v[208:209], v[80:83]// 00000000860C: D3D70050 0D43A180
	buffer_load_dwordx4 a[32:35], v36, s[24:27], 0 offen       // 000000008614: E05C1000 80862024
	v_mfma_i32_16x16x32_i8 v[80:83], a[130:131], v[210:211], v[80:83]// 00000000861C: D3D70050 0D43A582
	v_mfma_i32_16x16x32_i8 v[80:83], a[132:133], v[212:213], v[80:83]// 000000008624: D3D70050 0D43A984
	ds_read_b128 v[176:179], v2                                // 00000000862C: D9FE0000 B0000002
	v_mfma_i32_16x16x32_i8 v[80:83], a[134:135], v[214:215], v[80:83]// 000000008634: D3D70050 0D43AD86
	v_mfma_i32_16x16x32_i8 v[80:83], a[136:137], v[216:217], v[80:83]// 00000000863C: D3D70050 0D43B188
	buffer_load_dwordx4 a[36:39], v36, s[24:27], 0 offen offset:1024// 000000008644: E05C1400 80862424
	v_mfma_i32_16x16x32_i8 v[80:83], a[138:139], v[218:219], v[80:83]// 00000000864C: D3D70050 0D43B58A
	v_mfma_i32_16x16x32_i8 v[80:83], a[140:141], v[220:221], v[80:83]// 000000008654: D3D70050 0D43B98C
	ds_read_b128 v[180:183], v2 offset:64                      // 00000000865C: D9FE0040 B4000002
	v_mfma_i32_16x16x32_i8 v[80:83], a[142:143], v[222:223], v[80:83]// 000000008664: D3D70050 0D43BD8E
	v_mfma_i32_16x16x32_i8 v[84:87], a[128:129], v[224:225], v[84:87]// 00000000866C: D3D70054 0D53C180
	buffer_load_dwordx4 a[40:43], v36, s[24:27], 0 offen offset:2048// 000000008674: E05C1800 80862824
	v_mfma_i32_16x16x32_i8 v[84:87], a[130:131], v[226:227], v[84:87]// 00000000867C: D3D70054 0D53C582
	v_mfma_i32_16x16x32_i8 v[84:87], a[132:133], v[228:229], v[84:87]// 000000008684: D3D70054 0D53C984
	ds_read_b128 v[184:187], v2 offset:128                     // 00000000868C: D9FE0080 B8000002
	v_mfma_i32_16x16x32_i8 v[84:87], a[134:135], v[230:231], v[84:87]// 000000008694: D3D70054 0D53CD86
	v_mfma_i32_16x16x32_i8 v[84:87], a[136:137], v[232:233], v[84:87]// 00000000869C: D3D70054 0D53D188
	buffer_load_dwordx4 a[44:47], v36, s[24:27], 0 offen offset:3072// 0000000086A4: E05C1C00 80862C24
	v_mfma_i32_16x16x32_i8 v[84:87], a[138:139], v[234:235], v[84:87]// 0000000086AC: D3D70054 0D53D58A
	v_mfma_i32_16x16x32_i8 v[84:87], a[140:141], v[236:237], v[84:87]// 0000000086B4: D3D70054 0D53D98C
	ds_read_b128 v[188:191], v2 offset:192                     // 0000000086BC: D9FE00C0 BC000002
	v_mfma_i32_16x16x32_i8 v[84:87], a[142:143], v[238:239], v[84:87]// 0000000086C4: D3D70054 0D53DD8E
	s_waitcnt vmcnt(20)                                        // 0000000086CC: BF8C4F74
	v_mfma_i32_16x16x32_i8 v[88:91], a[144:145], v[208:209], v[88:91]// 0000000086D0: D3D70058 0D63A190
	buffer_load_dwordx4 a[48:51], v37, s[24:27], 0 offen       // 0000000086D8: E05C1000 80863025
	v_mfma_i32_16x16x32_i8 v[88:91], a[146:147], v[210:211], v[88:91]// 0000000086E0: D3D70058 0D63A592
	v_mfma_i32_16x16x32_i8 v[88:91], a[148:149], v[212:213], v[88:91]// 0000000086E8: D3D70058 0D63A994
	ds_read_b128 v[192:195], v2 offset:1024                    // 0000000086F0: D9FE0400 C0000002
	v_mfma_i32_16x16x32_i8 v[88:91], a[150:151], v[214:215], v[88:91]// 0000000086F8: D3D70058 0D63AD96
	v_mfma_i32_16x16x32_i8 v[88:91], a[152:153], v[216:217], v[88:91]// 000000008700: D3D70058 0D63B198
	buffer_load_dwordx4 a[52:55], v37, s[24:27], 0 offen offset:1024// 000000008708: E05C1400 80863425
	v_mfma_i32_16x16x32_i8 v[88:91], a[154:155], v[218:219], v[88:91]// 000000008710: D3D70058 0D63B59A
	v_mfma_i32_16x16x32_i8 v[88:91], a[156:157], v[220:221], v[88:91]// 000000008718: D3D70058 0D63B99C
	ds_read_b128 v[196:199], v2 offset:1088                    // 000000008720: D9FE0440 C4000002
	v_mfma_i32_16x16x32_i8 v[88:91], a[158:159], v[222:223], v[88:91]// 000000008728: D3D70058 0D63BD9E
	v_mfma_i32_16x16x32_i8 v[92:95], a[144:145], v[224:225], v[92:95]// 000000008730: D3D7005C 0D73C190
	buffer_load_dwordx4 a[56:59], v37, s[24:27], 0 offen offset:2048// 000000008738: E05C1800 80863825
	v_mfma_i32_16x16x32_i8 v[92:95], a[146:147], v[226:227], v[92:95]// 000000008740: D3D7005C 0D73C592
	v_mfma_i32_16x16x32_i8 v[92:95], a[148:149], v[228:229], v[92:95]// 000000008748: D3D7005C 0D73C994
	ds_read_b128 v[200:203], v2 offset:1152                    // 000000008750: D9FE0480 C8000002
	v_mfma_i32_16x16x32_i8 v[92:95], a[150:151], v[230:231], v[92:95]// 000000008758: D3D7005C 0D73CD96
	v_mfma_i32_16x16x32_i8 v[92:95], a[152:153], v[232:233], v[92:95]// 000000008760: D3D7005C 0D73D198
	buffer_load_dwordx4 a[60:63], v37, s[24:27], 0 offen offset:3072// 000000008768: E05C1C00 80863C25
	v_mfma_i32_16x16x32_i8 v[92:95], a[154:155], v[234:235], v[92:95]// 000000008770: D3D7005C 0D73D59A
	v_mfma_i32_16x16x32_i8 v[92:95], a[156:157], v[236:237], v[92:95]// 000000008778: D3D7005C 0D73D99C
	ds_read_b128 v[204:207], v2 offset:1216                    // 000000008780: D9FE04C0 CC000002
	v_mfma_i32_16x16x32_i8 v[92:95], a[158:159], v[238:239], v[92:95]// 000000008788: D3D7005C 0D73DD9E
	s_waitcnt vmcnt(20)                                        // 000000008790: BF8C4F74
	v_mfma_i32_16x16x32_i8 v[96:99], a[160:161], v[208:209], v[96:99]// 000000008794: D3D70060 0D83A1A0
	buffer_load_dwordx4 a[64:67], v38, s[24:27], 0 offen       // 00000000879C: E05C1000 80864026
	v_mfma_i32_16x16x32_i8 v[96:99], a[162:163], v[210:211], v[96:99]// 0000000087A4: D3D70060 0D83A5A2
	v_mfma_i32_16x16x32_i8 v[96:99], a[164:165], v[212:213], v[96:99]// 0000000087AC: D3D70060 0D83A9A4
	v_mfma_i32_16x16x32_i8 v[96:99], a[166:167], v[214:215], v[96:99]// 0000000087B4: D3D70060 0D83ADA6
	v_mfma_i32_16x16x32_i8 v[96:99], a[168:169], v[216:217], v[96:99]// 0000000087BC: D3D70060 0D83B1A8
	buffer_load_dwordx4 a[68:71], v38, s[24:27], 0 offen offset:1024// 0000000087C4: E05C1400 80864426
	v_mfma_i32_16x16x32_i8 v[96:99], a[170:171], v[218:219], v[96:99]// 0000000087CC: D3D70060 0D83B5AA
	v_mfma_i32_16x16x32_i8 v[96:99], a[172:173], v[220:221], v[96:99]// 0000000087D4: D3D70060 0D83B9AC
	v_mfma_i32_16x16x32_i8 v[96:99], a[174:175], v[222:223], v[96:99]// 0000000087DC: D3D70060 0D83BDAE
	v_mfma_i32_16x16x32_i8 v[100:103], a[160:161], v[224:225], v[100:103]// 0000000087E4: D3D70064 0D93C1A0
	buffer_load_dwordx4 a[72:75], v38, s[24:27], 0 offen offset:2048// 0000000087EC: E05C1800 80864826
	v_mfma_i32_16x16x32_i8 v[100:103], a[162:163], v[226:227], v[100:103]// 0000000087F4: D3D70064 0D93C5A2
	v_mfma_i32_16x16x32_i8 v[100:103], a[164:165], v[228:229], v[100:103]// 0000000087FC: D3D70064 0D93C9A4
	v_mfma_i32_16x16x32_i8 v[100:103], a[166:167], v[230:231], v[100:103]// 000000008804: D3D70064 0D93CDA6
	v_mfma_i32_16x16x32_i8 v[100:103], a[168:169], v[232:233], v[100:103]// 00000000880C: D3D70064 0D93D1A8
	buffer_load_dwordx4 a[76:79], v38, s[24:27], 0 offen offset:3072// 000000008814: E05C1C00 80864C26
	v_mfma_i32_16x16x32_i8 v[100:103], a[170:171], v[234:235], v[100:103]// 00000000881C: D3D70064 0D93D5AA
	v_mfma_i32_16x16x32_i8 v[100:103], a[172:173], v[236:237], v[100:103]// 000000008824: D3D70064 0D93D9AC
	v_mfma_i32_16x16x32_i8 v[100:103], a[174:175], v[238:239], v[100:103]// 00000000882C: D3D70064 0D93DDAE
	s_waitcnt vmcnt(20)                                        // 000000008834: BF8C4F74
	v_mfma_i32_16x16x32_i8 v[104:107], a[176:177], v[208:209], v[104:107]// 000000008838: D3D70068 0DA3A1B0
	buffer_load_dwordx4 a[80:83], v39, s[24:27], 0 offen       // 000000008840: E05C1000 80865027
	v_mfma_i32_16x16x32_i8 v[104:107], a[178:179], v[210:211], v[104:107]// 000000008848: D3D70068 0DA3A5B2
	v_mfma_i32_16x16x32_i8 v[104:107], a[180:181], v[212:213], v[104:107]// 000000008850: D3D70068 0DA3A9B4
	v_mfma_i32_16x16x32_i8 v[104:107], a[182:183], v[214:215], v[104:107]// 000000008858: D3D70068 0DA3ADB6
	v_mfma_i32_16x16x32_i8 v[104:107], a[184:185], v[216:217], v[104:107]// 000000008860: D3D70068 0DA3B1B8
	buffer_load_dwordx4 a[84:87], v39, s[24:27], 0 offen offset:1024// 000000008868: E05C1400 80865427
	v_mfma_i32_16x16x32_i8 v[104:107], a[186:187], v[218:219], v[104:107]// 000000008870: D3D70068 0DA3B5BA
	v_mfma_i32_16x16x32_i8 v[104:107], a[188:189], v[220:221], v[104:107]// 000000008878: D3D70068 0DA3B9BC
	v_mfma_i32_16x16x32_i8 v[104:107], a[190:191], v[222:223], v[104:107]// 000000008880: D3D70068 0DA3BDBE
	v_mfma_i32_16x16x32_i8 v[108:111], a[176:177], v[224:225], v[108:111]// 000000008888: D3D7006C 0DB3C1B0
	buffer_load_dwordx4 a[88:91], v39, s[24:27], 0 offen offset:2048// 000000008890: E05C1800 80865827
	v_mfma_i32_16x16x32_i8 v[108:111], a[178:179], v[226:227], v[108:111]// 000000008898: D3D7006C 0DB3C5B2
	v_mfma_i32_16x16x32_i8 v[108:111], a[180:181], v[228:229], v[108:111]// 0000000088A0: D3D7006C 0DB3C9B4
	v_mfma_i32_16x16x32_i8 v[108:111], a[182:183], v[230:231], v[108:111]// 0000000088A8: D3D7006C 0DB3CDB6
	v_mfma_i32_16x16x32_i8 v[108:111], a[184:185], v[232:233], v[108:111]// 0000000088B0: D3D7006C 0DB3D1B8
	buffer_load_dwordx4 a[92:95], v39, s[24:27], 0 offen offset:3072// 0000000088B8: E05C1C00 80865C27
	v_mfma_i32_16x16x32_i8 v[108:111], a[186:187], v[234:235], v[108:111]// 0000000088C0: D3D7006C 0DB3D5BA
	v_mfma_i32_16x16x32_i8 v[108:111], a[188:189], v[236:237], v[108:111]// 0000000088C8: D3D7006C 0DB3D9BC
	v_mfma_i32_16x16x32_i8 v[108:111], a[190:191], v[238:239], v[108:111]// 0000000088D0: D3D7006C 0DB3DDBE
	s_add_u32 s60, 0x200, s80                                  // 0000000088D8: 803C50FF 00000200
	s_cmp_lt_u32 s60, s81                                      // 0000000088E0: BF0A513C
	s_cselect_b32 s57, s57, 0                                  // 0000000088E4: 85398039
	s_add_u32 s60, 0x200, s80                                  // 0000000088E8: 803C50FF 00000200
	s_cmp_lt_u32 s60, s81                                      // 0000000088F0: BF0A513C
	s_cselect_b32 s58, s58, 0                                  // 0000000088F4: 853A803A
	s_add_u32 s20, s57, s20                                    // 0000000088F8: 80141439
	s_addc_u32 s21, 0, s21                                     // 0000000088FC: 82151580
	s_add_u32 s24, s58, s24                                    // 000000008900: 8018183A
	s_addc_u32 s25, 0, s25                                     // 000000008904: 82191980
	s_add_u32 s92, s90, s92                                    // 000000008908: 805C5C5A
	s_addc_u32 s93, 0, s93                                     // 00000000890C: 825D5D80
	s_addk_i32 s80, 0x100                                      // 000000008910: B7500100
	s_cmp_lt_i32 s80, s81                                      // 000000008914: BF045150
	s_cbranch_scc0 label_16C8                                  // 000000008918: BF840001
	s_branch label_126F                                        // 00000000891C: BF82FBA7

0000000000008920 <label_16C8>:
	s_mov_b32 s36, -1                                          // 000000008920: BEA400C1
	s_mov_b32 s37, -1                                          // 000000008924: BEA500C1
	s_mov_b64 s[60:61], 0                                      // 000000008928: BEBC0180
	s_cmp_lt_u32 s82, s66                                      // 00000000892C: BF0A4252
	s_cselect_b64 s[20:21], s[36:37], s[60:61]                 // 000000008930: 85943C24
	s_cmp_lt_u32 s83, s66                                      // 000000008934: BF0A4253
	s_cselect_b64 s[22:23], s[36:37], s[60:61]                 // 000000008938: 85963C24
	s_cmp_lt_u32 s84, s66                                      // 00000000893C: BF0A4254
	s_cselect_b64 s[24:25], s[36:37], s[60:61]                 // 000000008940: 85983C24
	s_cmp_lt_u32 s85, s66                                      // 000000008944: BF0A4255
	s_cselect_b64 s[26:27], s[36:37], s[60:61]                 // 000000008948: 859A3C24
	s_cmp_lt_u32 s86, s66                                      // 00000000894C: BF0A4256
	s_cselect_b64 s[28:29], s[36:37], s[60:61]                 // 000000008950: 859C3C24
	s_cmp_lt_u32 s87, s66                                      // 000000008954: BF0A4257
	s_cselect_b64 s[30:31], s[36:37], s[60:61]                 // 000000008958: 859E3C24
	s_cmp_lt_u32 s88, s66                                      // 00000000895C: BF0A4258
	s_cselect_b64 s[32:33], s[36:37], s[60:61]                 // 000000008960: 85A03C24
	s_cmp_lt_u32 s89, s66                                      // 000000008964: BF0A4259
	s_cselect_b64 s[34:35], s[36:37], s[60:61]                 // 000000008968: 85A23C24
	v_cvt_f32_i32_e32 v128, v128                               // 00000000896C: 7F000B80
	v_cvt_f32_i32_e32 v129, v129                               // 000000008970: 7F020B81
	v_cvt_f32_i32_e32 v130, v130                               // 000000008974: 7F040B82
	v_cvt_f32_i32_e32 v131, v131                               // 000000008978: 7F060B83
	v_mul_f32_e32 v128, v14, v128                              // 00000000897C: 0B01010E
	v_mul_f32_e32 v129, v14, v129                              // 000000008980: 0B03030E
	v_mul_f32_e32 v130, v14, v130                              // 000000008984: 0B05050E
	v_mul_f32_e32 v131, v14, v131                              // 000000008988: 0B07070E
	v_mul_f32_dpp v128, v16, v128 row_newbcast:0 row_mask:0xf bank_mask:0xf// 00000000898C: 0B0100FA FF015010
	v_mul_f32_dpp v129, v16, v129 row_newbcast:1 row_mask:0xf bank_mask:0xf// 000000008994: 0B0302FA FF015110
	v_mul_f32_dpp v130, v16, v130 row_newbcast:2 row_mask:0xf bank_mask:0xf// 00000000899C: 0B0504FA FF015210
	v_mul_f32_dpp v131, v16, v131 row_newbcast:3 row_mask:0xf bank_mask:0xf// 0000000089A4: 0B0706FA FF015310
	v_cvt_f32_i32_e32 v132, v132                               // 0000000089AC: 7F080B84
	v_cvt_f32_i32_e32 v133, v133                               // 0000000089B0: 7F0A0B85
	v_cvt_f32_i32_e32 v134, v134                               // 0000000089B4: 7F0C0B86
	v_cvt_f32_i32_e32 v135, v135                               // 0000000089B8: 7F0E0B87
	v_mul_f32_e32 v132, v15, v132                              // 0000000089BC: 0B09090F
	v_mul_f32_e32 v133, v15, v133                              // 0000000089C0: 0B0B0B0F
	v_mul_f32_e32 v134, v15, v134                              // 0000000089C4: 0B0D0D0F
	v_mul_f32_e32 v135, v15, v135                              // 0000000089C8: 0B0F0F0F
	v_mul_f32_dpp v132, v16, v132 row_newbcast:0 row_mask:0xf bank_mask:0xf// 0000000089CC: 0B0908FA FF015010
	v_mul_f32_dpp v133, v16, v133 row_newbcast:1 row_mask:0xf bank_mask:0xf// 0000000089D4: 0B0B0AFA FF015110
	v_mul_f32_dpp v134, v16, v134 row_newbcast:2 row_mask:0xf bank_mask:0xf// 0000000089DC: 0B0D0CFA FF015210
	v_mul_f32_dpp v135, v16, v135 row_newbcast:3 row_mask:0xf bank_mask:0xf// 0000000089E4: 0B0F0EFA FF015310
	v_cvt_f32_i32_e32 v136, v136                               // 0000000089EC: 7F100B88
	v_cvt_f32_i32_e32 v137, v137                               // 0000000089F0: 7F120B89
	v_cvt_f32_i32_e32 v138, v138                               // 0000000089F4: 7F140B8A
	v_cvt_f32_i32_e32 v139, v139                               // 0000000089F8: 7F160B8B
	v_mul_f32_e32 v136, v14, v136                              // 0000000089FC: 0B11110E
	v_mul_f32_e32 v137, v14, v137                              // 000000008A00: 0B13130E
	v_mul_f32_e32 v138, v14, v138                              // 000000008A04: 0B15150E
	v_mul_f32_e32 v139, v14, v139                              // 000000008A08: 0B17170E
	v_mul_f32_dpp v136, v16, v136 row_newbcast:4 row_mask:0xf bank_mask:0xf// 000000008A0C: 0B1110FA FF015410
	v_mul_f32_dpp v137, v16, v137 row_newbcast:5 row_mask:0xf bank_mask:0xf// 000000008A14: 0B1312FA FF015510
	v_mul_f32_dpp v138, v16, v138 row_newbcast:6 row_mask:0xf bank_mask:0xf// 000000008A1C: 0B1514FA FF015610
	v_mul_f32_dpp v139, v16, v139 row_newbcast:7 row_mask:0xf bank_mask:0xf// 000000008A24: 0B1716FA FF015710
	v_cvt_f32_i32_e32 v140, v140                               // 000000008A2C: 7F180B8C
	v_cvt_f32_i32_e32 v141, v141                               // 000000008A30: 7F1A0B8D
	v_cvt_f32_i32_e32 v142, v142                               // 000000008A34: 7F1C0B8E
	v_cvt_f32_i32_e32 v143, v143                               // 000000008A38: 7F1E0B8F
	v_mul_f32_e32 v140, v15, v140                              // 000000008A3C: 0B19190F
	v_mul_f32_e32 v141, v15, v141                              // 000000008A40: 0B1B1B0F
	v_mul_f32_e32 v142, v15, v142                              // 000000008A44: 0B1D1D0F
	v_mul_f32_e32 v143, v15, v143                              // 000000008A48: 0B1F1F0F
	v_mul_f32_dpp v140, v16, v140 row_newbcast:4 row_mask:0xf bank_mask:0xf// 000000008A4C: 0B1918FA FF015410
	v_mul_f32_dpp v141, v16, v141 row_newbcast:5 row_mask:0xf bank_mask:0xf// 000000008A54: 0B1B1AFA FF015510
	v_mul_f32_dpp v142, v16, v142 row_newbcast:6 row_mask:0xf bank_mask:0xf// 000000008A5C: 0B1D1CFA FF015610
	v_mul_f32_dpp v143, v16, v143 row_newbcast:7 row_mask:0xf bank_mask:0xf// 000000008A64: 0B1F1EFA FF015710
	v_cvt_f32_i32_e32 v144, v144                               // 000000008A6C: 7F200B90
	v_cvt_f32_i32_e32 v145, v145                               // 000000008A70: 7F220B91
	v_cvt_f32_i32_e32 v146, v146                               // 000000008A74: 7F240B92
	v_cvt_f32_i32_e32 v147, v147                               // 000000008A78: 7F260B93
	v_mul_f32_e32 v144, v14, v144                              // 000000008A7C: 0B21210E
	v_mul_f32_e32 v145, v14, v145                              // 000000008A80: 0B23230E
	v_mul_f32_e32 v146, v14, v146                              // 000000008A84: 0B25250E
	v_mul_f32_e32 v147, v14, v147                              // 000000008A88: 0B27270E
	v_mul_f32_dpp v144, v16, v144 row_newbcast:8 row_mask:0xf bank_mask:0xf// 000000008A8C: 0B2120FA FF015810
	v_mul_f32_dpp v145, v16, v145 row_newbcast:9 row_mask:0xf bank_mask:0xf// 000000008A94: 0B2322FA FF015910
	v_mul_f32_dpp v146, v16, v146 row_newbcast:10 row_mask:0xf bank_mask:0xf// 000000008A9C: 0B2524FA FF015A10
	v_mul_f32_dpp v147, v16, v147 row_newbcast:11 row_mask:0xf bank_mask:0xf// 000000008AA4: 0B2726FA FF015B10
	v_cvt_f32_i32_e32 v148, v148                               // 000000008AAC: 7F280B94
	v_cvt_f32_i32_e32 v149, v149                               // 000000008AB0: 7F2A0B95
	v_cvt_f32_i32_e32 v150, v150                               // 000000008AB4: 7F2C0B96
	v_cvt_f32_i32_e32 v151, v151                               // 000000008AB8: 7F2E0B97
	v_mul_f32_e32 v148, v15, v148                              // 000000008ABC: 0B29290F
	v_mul_f32_e32 v149, v15, v149                              // 000000008AC0: 0B2B2B0F
	v_mul_f32_e32 v150, v15, v150                              // 000000008AC4: 0B2D2D0F
	v_mul_f32_e32 v151, v15, v151                              // 000000008AC8: 0B2F2F0F
	v_mul_f32_dpp v148, v16, v148 row_newbcast:8 row_mask:0xf bank_mask:0xf// 000000008ACC: 0B2928FA FF015810
	v_mul_f32_dpp v149, v16, v149 row_newbcast:9 row_mask:0xf bank_mask:0xf// 000000008AD4: 0B2B2AFA FF015910
	v_mul_f32_dpp v150, v16, v150 row_newbcast:10 row_mask:0xf bank_mask:0xf// 000000008ADC: 0B2D2CFA FF015A10
	v_mul_f32_dpp v151, v16, v151 row_newbcast:11 row_mask:0xf bank_mask:0xf// 000000008AE4: 0B2F2EFA FF015B10
	v_cvt_f32_i32_e32 v152, v152                               // 000000008AEC: 7F300B98
	v_cvt_f32_i32_e32 v153, v153                               // 000000008AF0: 7F320B99
	v_cvt_f32_i32_e32 v154, v154                               // 000000008AF4: 7F340B9A
	v_cvt_f32_i32_e32 v155, v155                               // 000000008AF8: 7F360B9B
	v_mul_f32_e32 v152, v14, v152                              // 000000008AFC: 0B31310E
	v_mul_f32_e32 v153, v14, v153                              // 000000008B00: 0B33330E
	v_mul_f32_e32 v154, v14, v154                              // 000000008B04: 0B35350E
	v_mul_f32_e32 v155, v14, v155                              // 000000008B08: 0B37370E
	v_mul_f32_dpp v152, v16, v152 row_newbcast:12 row_mask:0xf bank_mask:0xf// 000000008B0C: 0B3130FA FF015C10
	v_mul_f32_dpp v153, v16, v153 row_newbcast:13 row_mask:0xf bank_mask:0xf// 000000008B14: 0B3332FA FF015D10
	v_mul_f32_dpp v154, v16, v154 row_newbcast:14 row_mask:0xf bank_mask:0xf// 000000008B1C: 0B3534FA FF015E10
	v_mul_f32_dpp v155, v16, v155 row_newbcast:15 row_mask:0xf bank_mask:0xf// 000000008B24: 0B3736FA FF015F10
	v_cvt_f32_i32_e32 v156, v156                               // 000000008B2C: 7F380B9C
	v_cvt_f32_i32_e32 v157, v157                               // 000000008B30: 7F3A0B9D
	v_cvt_f32_i32_e32 v158, v158                               // 000000008B34: 7F3C0B9E
	v_cvt_f32_i32_e32 v159, v159                               // 000000008B38: 7F3E0B9F
	v_mul_f32_e32 v156, v15, v156                              // 000000008B3C: 0B39390F
	v_mul_f32_e32 v157, v15, v157                              // 000000008B40: 0B3B3B0F
	v_mul_f32_e32 v158, v15, v158                              // 000000008B44: 0B3D3D0F
	v_mul_f32_e32 v159, v15, v159                              // 000000008B48: 0B3F3F0F
	v_mul_f32_dpp v156, v16, v156 row_newbcast:12 row_mask:0xf bank_mask:0xf// 000000008B4C: 0B3938FA FF015C10
	v_mul_f32_dpp v157, v16, v157 row_newbcast:13 row_mask:0xf bank_mask:0xf// 000000008B54: 0B3B3AFA FF015D10
	v_mul_f32_dpp v158, v16, v158 row_newbcast:14 row_mask:0xf bank_mask:0xf// 000000008B5C: 0B3D3CFA FF015E10
	v_mul_f32_dpp v159, v16, v159 row_newbcast:15 row_mask:0xf bank_mask:0xf// 000000008B64: 0B3F3EFA FF015F10
	v_cvt_f32_i32_e32 v160, v160                               // 000000008B6C: 7F400BA0
	v_cvt_f32_i32_e32 v161, v161                               // 000000008B70: 7F420BA1
	v_cvt_f32_i32_e32 v162, v162                               // 000000008B74: 7F440BA2
	v_cvt_f32_i32_e32 v163, v163                               // 000000008B78: 7F460BA3
	v_mul_f32_e32 v160, v14, v160                              // 000000008B7C: 0B41410E
	v_mul_f32_e32 v161, v14, v161                              // 000000008B80: 0B43430E
	v_mul_f32_e32 v162, v14, v162                              // 000000008B84: 0B45450E
	v_mul_f32_e32 v163, v14, v163                              // 000000008B88: 0B47470E
	v_mul_f32_dpp v160, v17, v160 row_newbcast:0 row_mask:0xf bank_mask:0xf// 000000008B8C: 0B4140FA FF015011
	v_mul_f32_dpp v161, v17, v161 row_newbcast:1 row_mask:0xf bank_mask:0xf// 000000008B94: 0B4342FA FF015111
	v_mul_f32_dpp v162, v17, v162 row_newbcast:2 row_mask:0xf bank_mask:0xf// 000000008B9C: 0B4544FA FF015211
	v_mul_f32_dpp v163, v17, v163 row_newbcast:3 row_mask:0xf bank_mask:0xf// 000000008BA4: 0B4746FA FF015311
	v_cvt_f32_i32_e32 v164, v164                               // 000000008BAC: 7F480BA4
	v_cvt_f32_i32_e32 v165, v165                               // 000000008BB0: 7F4A0BA5
	v_cvt_f32_i32_e32 v166, v166                               // 000000008BB4: 7F4C0BA6
	v_cvt_f32_i32_e32 v167, v167                               // 000000008BB8: 7F4E0BA7
	v_mul_f32_e32 v164, v15, v164                              // 000000008BBC: 0B49490F
	v_mul_f32_e32 v165, v15, v165                              // 000000008BC0: 0B4B4B0F
	v_mul_f32_e32 v166, v15, v166                              // 000000008BC4: 0B4D4D0F
	v_mul_f32_e32 v167, v15, v167                              // 000000008BC8: 0B4F4F0F
	v_mul_f32_dpp v164, v17, v164 row_newbcast:0 row_mask:0xf bank_mask:0xf// 000000008BCC: 0B4948FA FF015011
	v_mul_f32_dpp v165, v17, v165 row_newbcast:1 row_mask:0xf bank_mask:0xf// 000000008BD4: 0B4B4AFA FF015111
	v_mul_f32_dpp v166, v17, v166 row_newbcast:2 row_mask:0xf bank_mask:0xf// 000000008BDC: 0B4D4CFA FF015211
	v_mul_f32_dpp v167, v17, v167 row_newbcast:3 row_mask:0xf bank_mask:0xf// 000000008BE4: 0B4F4EFA FF015311
	v_cvt_f32_i32_e32 v168, v168                               // 000000008BEC: 7F500BA8
	v_cvt_f32_i32_e32 v169, v169                               // 000000008BF0: 7F520BA9
	v_cvt_f32_i32_e32 v170, v170                               // 000000008BF4: 7F540BAA
	v_cvt_f32_i32_e32 v171, v171                               // 000000008BF8: 7F560BAB
	v_mul_f32_e32 v168, v14, v168                              // 000000008BFC: 0B51510E
	v_mul_f32_e32 v169, v14, v169                              // 000000008C00: 0B53530E
	v_mul_f32_e32 v170, v14, v170                              // 000000008C04: 0B55550E
	v_mul_f32_e32 v171, v14, v171                              // 000000008C08: 0B57570E
	v_mul_f32_dpp v168, v17, v168 row_newbcast:4 row_mask:0xf bank_mask:0xf// 000000008C0C: 0B5150FA FF015411
	v_mul_f32_dpp v169, v17, v169 row_newbcast:5 row_mask:0xf bank_mask:0xf// 000000008C14: 0B5352FA FF015511
	v_mul_f32_dpp v170, v17, v170 row_newbcast:6 row_mask:0xf bank_mask:0xf// 000000008C1C: 0B5554FA FF015611
	v_mul_f32_dpp v171, v17, v171 row_newbcast:7 row_mask:0xf bank_mask:0xf// 000000008C24: 0B5756FA FF015711
	v_cvt_f32_i32_e32 v172, v172                               // 000000008C2C: 7F580BAC
	v_cvt_f32_i32_e32 v173, v173                               // 000000008C30: 7F5A0BAD
	v_cvt_f32_i32_e32 v174, v174                               // 000000008C34: 7F5C0BAE
	v_cvt_f32_i32_e32 v175, v175                               // 000000008C38: 7F5E0BAF
	v_mul_f32_e32 v172, v15, v172                              // 000000008C3C: 0B59590F
	v_mul_f32_e32 v173, v15, v173                              // 000000008C40: 0B5B5B0F
	v_mul_f32_e32 v174, v15, v174                              // 000000008C44: 0B5D5D0F
	v_mul_f32_e32 v175, v15, v175                              // 000000008C48: 0B5F5F0F
	v_mul_f32_dpp v172, v17, v172 row_newbcast:4 row_mask:0xf bank_mask:0xf// 000000008C4C: 0B5958FA FF015411
	v_mul_f32_dpp v173, v17, v173 row_newbcast:5 row_mask:0xf bank_mask:0xf// 000000008C54: 0B5B5AFA FF015511
	v_mul_f32_dpp v174, v17, v174 row_newbcast:6 row_mask:0xf bank_mask:0xf// 000000008C5C: 0B5D5CFA FF015611
	v_mul_f32_dpp v175, v17, v175 row_newbcast:7 row_mask:0xf bank_mask:0xf// 000000008C64: 0B5F5EFA FF015711
	v_cvt_f32_i32_e32 v64, v64                                 // 000000008C6C: 7E800B40
	v_cvt_f32_i32_e32 v65, v65                                 // 000000008C70: 7E820B41
	v_cvt_f32_i32_e32 v66, v66                                 // 000000008C74: 7E840B42
	v_cvt_f32_i32_e32 v67, v67                                 // 000000008C78: 7E860B43
	v_mul_f32_e32 v64, v14, v64                                // 000000008C7C: 0A80810E
	v_mul_f32_e32 v65, v14, v65                                // 000000008C80: 0A82830E
	v_mul_f32_e32 v66, v14, v66                                // 000000008C84: 0A84850E
	v_mul_f32_e32 v67, v14, v67                                // 000000008C88: 0A86870E
	v_mul_f32_dpp v64, v48, v64 row_newbcast:0 row_mask:0xf bank_mask:0xf// 000000008C8C: 0A8080FA FF015030
	v_mul_f32_dpp v65, v48, v65 row_newbcast:1 row_mask:0xf bank_mask:0xf// 000000008C94: 0A8282FA FF015130
	v_mul_f32_dpp v66, v48, v66 row_newbcast:2 row_mask:0xf bank_mask:0xf// 000000008C9C: 0A8484FA FF015230
	v_mul_f32_dpp v67, v48, v67 row_newbcast:3 row_mask:0xf bank_mask:0xf// 000000008CA4: 0A8686FA FF015330
	v_cvt_f32_i32_e32 v68, v68                                 // 000000008CAC: 7E880B44
	v_cvt_f32_i32_e32 v69, v69                                 // 000000008CB0: 7E8A0B45
	v_cvt_f32_i32_e32 v70, v70                                 // 000000008CB4: 7E8C0B46
	v_cvt_f32_i32_e32 v71, v71                                 // 000000008CB8: 7E8E0B47
	v_mul_f32_e32 v68, v15, v68                                // 000000008CBC: 0A88890F
	v_mul_f32_e32 v69, v15, v69                                // 000000008CC0: 0A8A8B0F
	v_mul_f32_e32 v70, v15, v70                                // 000000008CC4: 0A8C8D0F
	v_mul_f32_e32 v71, v15, v71                                // 000000008CC8: 0A8E8F0F
	v_mul_f32_dpp v68, v48, v68 row_newbcast:0 row_mask:0xf bank_mask:0xf// 000000008CCC: 0A8888FA FF015030
	v_mul_f32_dpp v69, v48, v69 row_newbcast:1 row_mask:0xf bank_mask:0xf// 000000008CD4: 0A8A8AFA FF015130
	v_mul_f32_dpp v70, v48, v70 row_newbcast:2 row_mask:0xf bank_mask:0xf// 000000008CDC: 0A8C8CFA FF015230
	v_mul_f32_dpp v71, v48, v71 row_newbcast:3 row_mask:0xf bank_mask:0xf// 000000008CE4: 0A8E8EFA FF015330
	v_cvt_f32_i32_e32 v72, v72                                 // 000000008CEC: 7E900B48
	v_cvt_f32_i32_e32 v73, v73                                 // 000000008CF0: 7E920B49
	v_cvt_f32_i32_e32 v74, v74                                 // 000000008CF4: 7E940B4A
	v_cvt_f32_i32_e32 v75, v75                                 // 000000008CF8: 7E960B4B
	v_mul_f32_e32 v72, v14, v72                                // 000000008CFC: 0A90910E
	v_mul_f32_e32 v73, v14, v73                                // 000000008D00: 0A92930E
	v_mul_f32_e32 v74, v14, v74                                // 000000008D04: 0A94950E
	v_mul_f32_e32 v75, v14, v75                                // 000000008D08: 0A96970E
	v_mul_f32_dpp v72, v48, v72 row_newbcast:4 row_mask:0xf bank_mask:0xf// 000000008D0C: 0A9090FA FF015430
	v_mul_f32_dpp v73, v48, v73 row_newbcast:5 row_mask:0xf bank_mask:0xf// 000000008D14: 0A9292FA FF015530
	v_mul_f32_dpp v74, v48, v74 row_newbcast:6 row_mask:0xf bank_mask:0xf// 000000008D1C: 0A9494FA FF015630
	v_mul_f32_dpp v75, v48, v75 row_newbcast:7 row_mask:0xf bank_mask:0xf// 000000008D24: 0A9696FA FF015730
	v_cvt_f32_i32_e32 v76, v76                                 // 000000008D2C: 7E980B4C
	v_cvt_f32_i32_e32 v77, v77                                 // 000000008D30: 7E9A0B4D
	v_cvt_f32_i32_e32 v78, v78                                 // 000000008D34: 7E9C0B4E
	v_cvt_f32_i32_e32 v79, v79                                 // 000000008D38: 7E9E0B4F
	v_mul_f32_e32 v76, v15, v76                                // 000000008D3C: 0A98990F
	v_mul_f32_e32 v77, v15, v77                                // 000000008D40: 0A9A9B0F
	v_mul_f32_e32 v78, v15, v78                                // 000000008D44: 0A9C9D0F
	v_mul_f32_e32 v79, v15, v79                                // 000000008D48: 0A9E9F0F
	v_mul_f32_dpp v76, v48, v76 row_newbcast:4 row_mask:0xf bank_mask:0xf// 000000008D4C: 0A9898FA FF015430
	v_mul_f32_dpp v77, v48, v77 row_newbcast:5 row_mask:0xf bank_mask:0xf// 000000008D54: 0A9A9AFA FF015530
	v_mul_f32_dpp v78, v48, v78 row_newbcast:6 row_mask:0xf bank_mask:0xf// 000000008D5C: 0A9C9CFA FF015630
	v_mul_f32_dpp v79, v48, v79 row_newbcast:7 row_mask:0xf bank_mask:0xf// 000000008D64: 0A9E9EFA FF015730
	v_cvt_f32_i32_e32 v80, v80                                 // 000000008D6C: 7EA00B50
	v_cvt_f32_i32_e32 v81, v81                                 // 000000008D70: 7EA20B51
	v_cvt_f32_i32_e32 v82, v82                                 // 000000008D74: 7EA40B52
	v_cvt_f32_i32_e32 v83, v83                                 // 000000008D78: 7EA60B53
	v_mul_f32_e32 v80, v14, v80                                // 000000008D7C: 0AA0A10E
	v_mul_f32_e32 v81, v14, v81                                // 000000008D80: 0AA2A30E
	v_mul_f32_e32 v82, v14, v82                                // 000000008D84: 0AA4A50E
	v_mul_f32_e32 v83, v14, v83                                // 000000008D88: 0AA6A70E
	v_mul_f32_dpp v80, v48, v80 row_newbcast:8 row_mask:0xf bank_mask:0xf// 000000008D8C: 0AA0A0FA FF015830
	v_mul_f32_dpp v81, v48, v81 row_newbcast:9 row_mask:0xf bank_mask:0xf// 000000008D94: 0AA2A2FA FF015930
	v_mul_f32_dpp v82, v48, v82 row_newbcast:10 row_mask:0xf bank_mask:0xf// 000000008D9C: 0AA4A4FA FF015A30
	v_mul_f32_dpp v83, v48, v83 row_newbcast:11 row_mask:0xf bank_mask:0xf// 000000008DA4: 0AA6A6FA FF015B30
	v_cvt_f32_i32_e32 v84, v84                                 // 000000008DAC: 7EA80B54
	v_cvt_f32_i32_e32 v85, v85                                 // 000000008DB0: 7EAA0B55
	v_cvt_f32_i32_e32 v86, v86                                 // 000000008DB4: 7EAC0B56
	v_cvt_f32_i32_e32 v87, v87                                 // 000000008DB8: 7EAE0B57
	v_mul_f32_e32 v84, v15, v84                                // 000000008DBC: 0AA8A90F
	v_mul_f32_e32 v85, v15, v85                                // 000000008DC0: 0AAAAB0F
	v_mul_f32_e32 v86, v15, v86                                // 000000008DC4: 0AACAD0F
	v_mul_f32_e32 v87, v15, v87                                // 000000008DC8: 0AAEAF0F
	v_mul_f32_dpp v84, v48, v84 row_newbcast:8 row_mask:0xf bank_mask:0xf// 000000008DCC: 0AA8A8FA FF015830
	v_mul_f32_dpp v85, v48, v85 row_newbcast:9 row_mask:0xf bank_mask:0xf// 000000008DD4: 0AAAAAFA FF015930
	v_mul_f32_dpp v86, v48, v86 row_newbcast:10 row_mask:0xf bank_mask:0xf// 000000008DDC: 0AACACFA FF015A30
	v_mul_f32_dpp v87, v48, v87 row_newbcast:11 row_mask:0xf bank_mask:0xf// 000000008DE4: 0AAEAEFA FF015B30
	v_cvt_f32_i32_e32 v88, v88                                 // 000000008DEC: 7EB00B58
	v_cvt_f32_i32_e32 v89, v89                                 // 000000008DF0: 7EB20B59
	v_cvt_f32_i32_e32 v90, v90                                 // 000000008DF4: 7EB40B5A
	v_cvt_f32_i32_e32 v91, v91                                 // 000000008DF8: 7EB60B5B
	v_mul_f32_e32 v88, v14, v88                                // 000000008DFC: 0AB0B10E
	v_mul_f32_e32 v89, v14, v89                                // 000000008E00: 0AB2B30E
	v_mul_f32_e32 v90, v14, v90                                // 000000008E04: 0AB4B50E
	v_mul_f32_e32 v91, v14, v91                                // 000000008E08: 0AB6B70E
	v_mul_f32_dpp v88, v48, v88 row_newbcast:12 row_mask:0xf bank_mask:0xf// 000000008E0C: 0AB0B0FA FF015C30
	v_mul_f32_dpp v89, v48, v89 row_newbcast:13 row_mask:0xf bank_mask:0xf// 000000008E14: 0AB2B2FA FF015D30
	v_mul_f32_dpp v90, v48, v90 row_newbcast:14 row_mask:0xf bank_mask:0xf// 000000008E1C: 0AB4B4FA FF015E30
	v_mul_f32_dpp v91, v48, v91 row_newbcast:15 row_mask:0xf bank_mask:0xf// 000000008E24: 0AB6B6FA FF015F30
	v_cvt_f32_i32_e32 v92, v92                                 // 000000008E2C: 7EB80B5C
	v_cvt_f32_i32_e32 v93, v93                                 // 000000008E30: 7EBA0B5D
	v_cvt_f32_i32_e32 v94, v94                                 // 000000008E34: 7EBC0B5E
	v_cvt_f32_i32_e32 v95, v95                                 // 000000008E38: 7EBE0B5F
	v_mul_f32_e32 v92, v15, v92                                // 000000008E3C: 0AB8B90F
	v_mul_f32_e32 v93, v15, v93                                // 000000008E40: 0ABABB0F
	v_mul_f32_e32 v94, v15, v94                                // 000000008E44: 0ABCBD0F
	v_mul_f32_e32 v95, v15, v95                                // 000000008E48: 0ABEBF0F
	v_mul_f32_dpp v92, v48, v92 row_newbcast:12 row_mask:0xf bank_mask:0xf// 000000008E4C: 0AB8B8FA FF015C30
	v_mul_f32_dpp v93, v48, v93 row_newbcast:13 row_mask:0xf bank_mask:0xf// 000000008E54: 0ABABAFA FF015D30
	v_mul_f32_dpp v94, v48, v94 row_newbcast:14 row_mask:0xf bank_mask:0xf// 000000008E5C: 0ABCBCFA FF015E30
	v_mul_f32_dpp v95, v48, v95 row_newbcast:15 row_mask:0xf bank_mask:0xf// 000000008E64: 0ABEBEFA FF015F30
	v_cvt_f32_i32_e32 v96, v96                                 // 000000008E6C: 7EC00B60
	v_cvt_f32_i32_e32 v97, v97                                 // 000000008E70: 7EC20B61
	v_cvt_f32_i32_e32 v98, v98                                 // 000000008E74: 7EC40B62
	v_cvt_f32_i32_e32 v99, v99                                 // 000000008E78: 7EC60B63
	v_mul_f32_e32 v96, v14, v96                                // 000000008E7C: 0AC0C10E
	v_mul_f32_e32 v97, v14, v97                                // 000000008E80: 0AC2C30E
	v_mul_f32_e32 v98, v14, v98                                // 000000008E84: 0AC4C50E
	v_mul_f32_e32 v99, v14, v99                                // 000000008E88: 0AC6C70E
	v_mul_f32_dpp v96, v49, v96 row_newbcast:0 row_mask:0xf bank_mask:0xf// 000000008E8C: 0AC0C0FA FF015031
	v_mul_f32_dpp v97, v49, v97 row_newbcast:1 row_mask:0xf bank_mask:0xf// 000000008E94: 0AC2C2FA FF015131
	v_mul_f32_dpp v98, v49, v98 row_newbcast:2 row_mask:0xf bank_mask:0xf// 000000008E9C: 0AC4C4FA FF015231
	v_mul_f32_dpp v99, v49, v99 row_newbcast:3 row_mask:0xf bank_mask:0xf// 000000008EA4: 0AC6C6FA FF015331
	v_cvt_f32_i32_e32 v100, v100                               // 000000008EAC: 7EC80B64
	v_cvt_f32_i32_e32 v101, v101                               // 000000008EB0: 7ECA0B65
	v_cvt_f32_i32_e32 v102, v102                               // 000000008EB4: 7ECC0B66
	v_cvt_f32_i32_e32 v103, v103                               // 000000008EB8: 7ECE0B67
	v_mul_f32_e32 v100, v15, v100                              // 000000008EBC: 0AC8C90F
	v_mul_f32_e32 v101, v15, v101                              // 000000008EC0: 0ACACB0F
	v_mul_f32_e32 v102, v15, v102                              // 000000008EC4: 0ACCCD0F
	v_mul_f32_e32 v103, v15, v103                              // 000000008EC8: 0ACECF0F
	v_mul_f32_dpp v100, v49, v100 row_newbcast:0 row_mask:0xf bank_mask:0xf// 000000008ECC: 0AC8C8FA FF015031
	v_mul_f32_dpp v101, v49, v101 row_newbcast:1 row_mask:0xf bank_mask:0xf// 000000008ED4: 0ACACAFA FF015131
	v_mul_f32_dpp v102, v49, v102 row_newbcast:2 row_mask:0xf bank_mask:0xf// 000000008EDC: 0ACCCCFA FF015231
	v_mul_f32_dpp v103, v49, v103 row_newbcast:3 row_mask:0xf bank_mask:0xf// 000000008EE4: 0ACECEFA FF015331
	v_cvt_f32_i32_e32 v104, v104                               // 000000008EEC: 7ED00B68
	v_cvt_f32_i32_e32 v105, v105                               // 000000008EF0: 7ED20B69
	v_cvt_f32_i32_e32 v106, v106                               // 000000008EF4: 7ED40B6A
	v_cvt_f32_i32_e32 v107, v107                               // 000000008EF8: 7ED60B6B
	v_mul_f32_e32 v104, v14, v104                              // 000000008EFC: 0AD0D10E
	v_mul_f32_e32 v105, v14, v105                              // 000000008F00: 0AD2D30E
	v_mul_f32_e32 v106, v14, v106                              // 000000008F04: 0AD4D50E
	v_mul_f32_e32 v107, v14, v107                              // 000000008F08: 0AD6D70E
	v_mul_f32_dpp v104, v49, v104 row_newbcast:4 row_mask:0xf bank_mask:0xf// 000000008F0C: 0AD0D0FA FF015431
	v_mul_f32_dpp v105, v49, v105 row_newbcast:5 row_mask:0xf bank_mask:0xf// 000000008F14: 0AD2D2FA FF015531
	v_mul_f32_dpp v106, v49, v106 row_newbcast:6 row_mask:0xf bank_mask:0xf// 000000008F1C: 0AD4D4FA FF015631
	v_mul_f32_dpp v107, v49, v107 row_newbcast:7 row_mask:0xf bank_mask:0xf// 000000008F24: 0AD6D6FA FF015731
	v_cvt_f32_i32_e32 v108, v108                               // 000000008F2C: 7ED80B6C
	v_cvt_f32_i32_e32 v109, v109                               // 000000008F30: 7EDA0B6D
	v_cvt_f32_i32_e32 v110, v110                               // 000000008F34: 7EDC0B6E
	v_cvt_f32_i32_e32 v111, v111                               // 000000008F38: 7EDE0B6F
	v_mul_f32_e32 v108, v15, v108                              // 000000008F3C: 0AD8D90F
	v_mul_f32_e32 v109, v15, v109                              // 000000008F40: 0ADADB0F
	v_mul_f32_e32 v110, v15, v110                              // 000000008F44: 0ADCDD0F
	v_mul_f32_e32 v111, v15, v111                              // 000000008F48: 0ADEDF0F
	v_mul_f32_dpp v108, v49, v108 row_newbcast:4 row_mask:0xf bank_mask:0xf// 000000008F4C: 0AD8D8FA FF015431
	v_mul_f32_dpp v109, v49, v109 row_newbcast:5 row_mask:0xf bank_mask:0xf// 000000008F54: 0ADADAFA FF015531
	v_mul_f32_dpp v110, v49, v110 row_newbcast:6 row_mask:0xf bank_mask:0xf// 000000008F5C: 0ADCDCFA FF015631
	v_mul_f32_dpp v111, v49, v111 row_newbcast:7 row_mask:0xf bank_mask:0xf// 000000008F64: 0ADEDEFA FF015731
	s_waitcnt vmcnt(20)                                        // 000000008F6C: BF8C4F74
	buffer_load_dwordx4 a[0:3], v40, s[12:15], 0 offen         // 000000008F70: E05C1000 80830028
	v_mul_f32_e64 v50, -v128, s6                               // 000000008F78: D1050032 20000D80
	v_mul_f32_e64 v51, -v129, s6                               // 000000008F80: D1050033 20000D81
	v_mul_f32_e64 v52, -v130, s6                               // 000000008F88: D1050034 20000D82
	v_mul_f32_e64 v53, -v131, s6                               // 000000008F90: D1050035 20000D83
	v_exp_f32_e32 v50, v50                                     // 000000008F98: 7E644132
	v_exp_f32_e32 v51, v51                                     // 000000008F9C: 7E664133
	v_exp_f32_e32 v52, v52                                     // 000000008FA0: 7E684134
	v_exp_f32_e32 v53, v53                                     // 000000008FA4: 7E6A4135
	buffer_load_dwordx4 a[4:7], v41, s[12:15], 0 offen         // 000000008FA8: E05C1000 80830429
	v_add_f32_e64 v50, v50, 1.0                                // 000000008FB0: D1010032 0001E532
	v_add_f32_e64 v51, v51, 1.0                                // 000000008FB8: D1010033 0001E533
	v_add_f32_e64 v52, v52, 1.0                                // 000000008FC0: D1010034 0001E534
	v_add_f32_e64 v53, v53, 1.0                                // 000000008FC8: D1010035 0001E535
	v_rcp_f32_e32 v50, v50                                     // 000000008FD0: 7E644532
	v_rcp_f32_e32 v51, v51                                     // 000000008FD4: 7E664533
	v_rcp_f32_e32 v52, v52                                     // 000000008FD8: 7E684534
	v_rcp_f32_e32 v53, v53                                     // 000000008FDC: 7E6A4535
	v_mul_f32_e32 v128, v128, v50                              // 000000008FE0: 0B006580
	v_mul_f32_e32 v129, v129, v51                              // 000000008FE4: 0B026781
	v_mul_f32_e32 v130, v130, v52                              // 000000008FE8: 0B046982
	v_mul_f32_e32 v131, v131, v53                              // 000000008FEC: 0B066B83
	v_mul_f32_e32 v128, v128, v64                              // 000000008FF0: 0B008180
	v_mul_f32_e32 v129, v129, v65                              // 000000008FF4: 0B028381
	v_mul_f32_e32 v130, v130, v66                              // 000000008FF8: 0B048582
	v_mul_f32_e32 v131, v131, v67                              // 000000008FFC: 0B068783
	buffer_load_dwordx4 a[8:11], v42, s[12:15], 0 offen        // 000000009000: E05C1000 8083082A
	v_mul_f32_e64 v50, -v132, s6                               // 000000009008: D1050032 20000D84
	v_mul_f32_e64 v51, -v133, s6                               // 000000009010: D1050033 20000D85
	v_mul_f32_e64 v52, -v134, s6                               // 000000009018: D1050034 20000D86
	v_mul_f32_e64 v53, -v135, s6                               // 000000009020: D1050035 20000D87
	v_exp_f32_e32 v50, v50                                     // 000000009028: 7E644132
	v_exp_f32_e32 v51, v51                                     // 00000000902C: 7E664133
	v_exp_f32_e32 v52, v52                                     // 000000009030: 7E684134
	v_exp_f32_e32 v53, v53                                     // 000000009034: 7E6A4135
	buffer_load_dwordx4 a[12:15], v43, s[12:15], 0 offen       // 000000009038: E05C1000 80830C2B
	s_add_u32 s12, s78, s12                                    // 000000009040: 800C0C4E
	s_addc_u32 s13, 0, s13                                     // 000000009044: 820D0D80
	v_add_f32_e64 v50, v50, 1.0                                // 000000009048: D1010032 0001E532
	v_add_f32_e64 v51, v51, 1.0                                // 000000009050: D1010033 0001E533
	v_add_f32_e64 v52, v52, 1.0                                // 000000009058: D1010034 0001E534
	v_add_f32_e64 v53, v53, 1.0                                // 000000009060: D1010035 0001E535
	v_rcp_f32_e32 v50, v50                                     // 000000009068: 7E644532
	v_rcp_f32_e32 v51, v51                                     // 00000000906C: 7E664533
	v_rcp_f32_e32 v52, v52                                     // 000000009070: 7E684534
	v_rcp_f32_e32 v53, v53                                     // 000000009074: 7E6A4535
	v_mul_f32_e32 v132, v132, v50                              // 000000009078: 0B086584
	v_mul_f32_e32 v133, v133, v51                              // 00000000907C: 0B0A6785
	v_mul_f32_e32 v134, v134, v52                              // 000000009080: 0B0C6986
	v_mul_f32_e32 v135, v135, v53                              // 000000009084: 0B0E6B87
	v_mul_f32_e32 v132, v132, v68                              // 000000009088: 0B088984
	v_mul_f32_e32 v133, v133, v69                              // 00000000908C: 0B0A8B85
	v_mul_f32_e32 v134, v134, v70                              // 000000009090: 0B0C8D86
	v_mul_f32_e32 v135, v135, v71                              // 000000009094: 0B0E8F87
	s_waitcnt vmcnt(20)                                        // 000000009098: BF8C4F74
	buffer_load_dwordx4 a[16:19], v40, s[12:15], 0 offen       // 00000000909C: E05C1000 80831028
	v_mul_f32_e64 v50, -v136, s6                               // 0000000090A4: D1050032 20000D88
	v_mul_f32_e64 v51, -v137, s6                               // 0000000090AC: D1050033 20000D89
	v_mul_f32_e64 v52, -v138, s6                               // 0000000090B4: D1050034 20000D8A
	v_mul_f32_e64 v53, -v139, s6                               // 0000000090BC: D1050035 20000D8B
	v_exp_f32_e32 v50, v50                                     // 0000000090C4: 7E644132
	v_exp_f32_e32 v51, v51                                     // 0000000090C8: 7E664133
	v_exp_f32_e32 v52, v52                                     // 0000000090CC: 7E684134
	v_exp_f32_e32 v53, v53                                     // 0000000090D0: 7E6A4135
	buffer_load_dwordx4 a[20:23], v41, s[12:15], 0 offen       // 0000000090D4: E05C1000 80831429
	v_add_f32_e64 v50, v50, 1.0                                // 0000000090DC: D1010032 0001E532
	v_add_f32_e64 v51, v51, 1.0                                // 0000000090E4: D1010033 0001E533
	v_add_f32_e64 v52, v52, 1.0                                // 0000000090EC: D1010034 0001E534
	v_add_f32_e64 v53, v53, 1.0                                // 0000000090F4: D1010035 0001E535
	v_rcp_f32_e32 v50, v50                                     // 0000000090FC: 7E644532
	v_rcp_f32_e32 v51, v51                                     // 000000009100: 7E664533
	v_rcp_f32_e32 v52, v52                                     // 000000009104: 7E684534
	v_rcp_f32_e32 v53, v53                                     // 000000009108: 7E6A4535
	v_mul_f32_e32 v136, v136, v50                              // 00000000910C: 0B106588
	v_mul_f32_e32 v137, v137, v51                              // 000000009110: 0B126789
	v_mul_f32_e32 v138, v138, v52                              // 000000009114: 0B14698A
	v_mul_f32_e32 v139, v139, v53                              // 000000009118: 0B166B8B
	v_mul_f32_e32 v136, v136, v72                              // 00000000911C: 0B109188
	v_mul_f32_e32 v137, v137, v73                              // 000000009120: 0B129389
	v_mul_f32_e32 v138, v138, v74                              // 000000009124: 0B14958A
	v_mul_f32_e32 v139, v139, v75                              // 000000009128: 0B16978B
	buffer_load_dwordx4 a[24:27], v42, s[12:15], 0 offen       // 00000000912C: E05C1000 8083182A
	v_mul_f32_e64 v50, -v140, s6                               // 000000009134: D1050032 20000D8C
	v_mul_f32_e64 v51, -v141, s6                               // 00000000913C: D1050033 20000D8D
	v_mul_f32_e64 v52, -v142, s6                               // 000000009144: D1050034 20000D8E
	v_mul_f32_e64 v53, -v143, s6                               // 00000000914C: D1050035 20000D8F
	v_exp_f32_e32 v50, v50                                     // 000000009154: 7E644132
	v_exp_f32_e32 v51, v51                                     // 000000009158: 7E664133
	v_exp_f32_e32 v52, v52                                     // 00000000915C: 7E684134
	v_exp_f32_e32 v53, v53                                     // 000000009160: 7E6A4135
	buffer_load_dwordx4 a[28:31], v43, s[12:15], 0 offen       // 000000009164: E05C1000 80831C2B
	s_add_u32 s12, s78, s12                                    // 00000000916C: 800C0C4E
	s_addc_u32 s13, 0, s13                                     // 000000009170: 820D0D80
	v_add_f32_e64 v50, v50, 1.0                                // 000000009174: D1010032 0001E532
	v_add_f32_e64 v51, v51, 1.0                                // 00000000917C: D1010033 0001E533
	v_add_f32_e64 v52, v52, 1.0                                // 000000009184: D1010034 0001E534
	v_add_f32_e64 v53, v53, 1.0                                // 00000000918C: D1010035 0001E535
	v_rcp_f32_e32 v50, v50                                     // 000000009194: 7E644532
	v_rcp_f32_e32 v51, v51                                     // 000000009198: 7E664533
	v_rcp_f32_e32 v52, v52                                     // 00000000919C: 7E684534
	v_rcp_f32_e32 v53, v53                                     // 0000000091A0: 7E6A4535
	v_mul_f32_e32 v140, v140, v50                              // 0000000091A4: 0B18658C
	v_mul_f32_e32 v141, v141, v51                              // 0000000091A8: 0B1A678D
	v_mul_f32_e32 v142, v142, v52                              // 0000000091AC: 0B1C698E
	v_mul_f32_e32 v143, v143, v53                              // 0000000091B0: 0B1E6B8F
	v_mul_f32_e32 v140, v140, v76                              // 0000000091B4: 0B18998C
	v_mul_f32_e32 v141, v141, v77                              // 0000000091B8: 0B1A9B8D
	v_mul_f32_e32 v142, v142, v78                              // 0000000091BC: 0B1C9D8E
	v_mul_f32_e32 v143, v143, v79                              // 0000000091C0: 0B1E9F8F
	s_waitcnt vmcnt(20)                                        // 0000000091C4: BF8C4F74
	buffer_load_dwordx4 a[32:35], v40, s[12:15], 0 offen       // 0000000091C8: E05C1000 80832028
	v_mul_f32_e64 v50, -v144, s6                               // 0000000091D0: D1050032 20000D90
	v_mul_f32_e64 v51, -v145, s6                               // 0000000091D8: D1050033 20000D91
	v_mul_f32_e64 v52, -v146, s6                               // 0000000091E0: D1050034 20000D92
	v_mul_f32_e64 v53, -v147, s6                               // 0000000091E8: D1050035 20000D93
	v_exp_f32_e32 v50, v50                                     // 0000000091F0: 7E644132
	v_exp_f32_e32 v51, v51                                     // 0000000091F4: 7E664133
	v_exp_f32_e32 v52, v52                                     // 0000000091F8: 7E684134
	v_exp_f32_e32 v53, v53                                     // 0000000091FC: 7E6A4135
	buffer_load_dwordx4 a[36:39], v41, s[12:15], 0 offen       // 000000009200: E05C1000 80832429
	v_add_f32_e64 v50, v50, 1.0                                // 000000009208: D1010032 0001E532
	v_add_f32_e64 v51, v51, 1.0                                // 000000009210: D1010033 0001E533
	v_add_f32_e64 v52, v52, 1.0                                // 000000009218: D1010034 0001E534
	v_add_f32_e64 v53, v53, 1.0                                // 000000009220: D1010035 0001E535
	v_rcp_f32_e32 v50, v50                                     // 000000009228: 7E644532
	v_rcp_f32_e32 v51, v51                                     // 00000000922C: 7E664533
	v_rcp_f32_e32 v52, v52                                     // 000000009230: 7E684534
	v_rcp_f32_e32 v53, v53                                     // 000000009234: 7E6A4535
	v_mul_f32_e32 v144, v144, v50                              // 000000009238: 0B206590
	v_mul_f32_e32 v145, v145, v51                              // 00000000923C: 0B226791
	v_mul_f32_e32 v146, v146, v52                              // 000000009240: 0B246992
	v_mul_f32_e32 v147, v147, v53                              // 000000009244: 0B266B93
	v_mul_f32_e32 v144, v144, v80                              // 000000009248: 0B20A190
	v_mul_f32_e32 v145, v145, v81                              // 00000000924C: 0B22A391
	v_mul_f32_e32 v146, v146, v82                              // 000000009250: 0B24A592
	v_mul_f32_e32 v147, v147, v83                              // 000000009254: 0B26A793
	buffer_load_dwordx4 a[40:43], v42, s[12:15], 0 offen       // 000000009258: E05C1000 8083282A
	v_mul_f32_e64 v50, -v148, s6                               // 000000009260: D1050032 20000D94
	v_mul_f32_e64 v51, -v149, s6                               // 000000009268: D1050033 20000D95
	v_mul_f32_e64 v52, -v150, s6                               // 000000009270: D1050034 20000D96
	v_mul_f32_e64 v53, -v151, s6                               // 000000009278: D1050035 20000D97
	v_exp_f32_e32 v50, v50                                     // 000000009280: 7E644132
	v_exp_f32_e32 v51, v51                                     // 000000009284: 7E664133
	v_exp_f32_e32 v52, v52                                     // 000000009288: 7E684134
	v_exp_f32_e32 v53, v53                                     // 00000000928C: 7E6A4135
	buffer_load_dwordx4 a[44:47], v43, s[12:15], 0 offen       // 000000009290: E05C1000 80832C2B
	s_add_u32 s12, s78, s12                                    // 000000009298: 800C0C4E
	s_addc_u32 s13, 0, s13                                     // 00000000929C: 820D0D80
	v_add_f32_e64 v50, v50, 1.0                                // 0000000092A0: D1010032 0001E532
	v_add_f32_e64 v51, v51, 1.0                                // 0000000092A8: D1010033 0001E533
	v_add_f32_e64 v52, v52, 1.0                                // 0000000092B0: D1010034 0001E534
	v_add_f32_e64 v53, v53, 1.0                                // 0000000092B8: D1010035 0001E535
	v_rcp_f32_e32 v50, v50                                     // 0000000092C0: 7E644532
	v_rcp_f32_e32 v51, v51                                     // 0000000092C4: 7E664533
	v_rcp_f32_e32 v52, v52                                     // 0000000092C8: 7E684534
	v_rcp_f32_e32 v53, v53                                     // 0000000092CC: 7E6A4535
	v_mul_f32_e32 v148, v148, v50                              // 0000000092D0: 0B286594
	v_mul_f32_e32 v149, v149, v51                              // 0000000092D4: 0B2A6795
	v_mul_f32_e32 v150, v150, v52                              // 0000000092D8: 0B2C6996
	v_mul_f32_e32 v151, v151, v53                              // 0000000092DC: 0B2E6B97
	v_mul_f32_e32 v148, v148, v84                              // 0000000092E0: 0B28A994
	v_mul_f32_e32 v149, v149, v85                              // 0000000092E4: 0B2AAB95
	v_mul_f32_e32 v150, v150, v86                              // 0000000092E8: 0B2CAD96
	v_mul_f32_e32 v151, v151, v87                              // 0000000092EC: 0B2EAF97
	s_waitcnt vmcnt(20)                                        // 0000000092F0: BF8C4F74
	buffer_load_dwordx4 a[48:51], v40, s[12:15], 0 offen       // 0000000092F4: E05C1000 80833028
	v_mul_f32_e64 v50, -v152, s6                               // 0000000092FC: D1050032 20000D98
	v_mul_f32_e64 v51, -v153, s6                               // 000000009304: D1050033 20000D99
	v_mul_f32_e64 v52, -v154, s6                               // 00000000930C: D1050034 20000D9A
	v_mul_f32_e64 v53, -v155, s6                               // 000000009314: D1050035 20000D9B
	v_exp_f32_e32 v50, v50                                     // 00000000931C: 7E644132
	v_exp_f32_e32 v51, v51                                     // 000000009320: 7E664133
	v_exp_f32_e32 v52, v52                                     // 000000009324: 7E684134
	v_exp_f32_e32 v53, v53                                     // 000000009328: 7E6A4135
	buffer_load_dwordx4 a[52:55], v41, s[12:15], 0 offen       // 00000000932C: E05C1000 80833429
	v_add_f32_e64 v50, v50, 1.0                                // 000000009334: D1010032 0001E532
	v_add_f32_e64 v51, v51, 1.0                                // 00000000933C: D1010033 0001E533
	v_add_f32_e64 v52, v52, 1.0                                // 000000009344: D1010034 0001E534
	v_add_f32_e64 v53, v53, 1.0                                // 00000000934C: D1010035 0001E535
	v_rcp_f32_e32 v50, v50                                     // 000000009354: 7E644532
	v_rcp_f32_e32 v51, v51                                     // 000000009358: 7E664533
	v_rcp_f32_e32 v52, v52                                     // 00000000935C: 7E684534
	v_rcp_f32_e32 v53, v53                                     // 000000009360: 7E6A4535
	v_mul_f32_e32 v152, v152, v50                              // 000000009364: 0B306598
	v_mul_f32_e32 v153, v153, v51                              // 000000009368: 0B326799
	v_mul_f32_e32 v154, v154, v52                              // 00000000936C: 0B34699A
	v_mul_f32_e32 v155, v155, v53                              // 000000009370: 0B366B9B
	v_mul_f32_e32 v152, v152, v88                              // 000000009374: 0B30B198
	v_mul_f32_e32 v153, v153, v89                              // 000000009378: 0B32B399
	v_mul_f32_e32 v154, v154, v90                              // 00000000937C: 0B34B59A
	v_mul_f32_e32 v155, v155, v91                              // 000000009380: 0B36B79B
	buffer_load_dwordx4 a[56:59], v42, s[12:15], 0 offen       // 000000009384: E05C1000 8083382A
	v_mul_f32_e64 v50, -v156, s6                               // 00000000938C: D1050032 20000D9C
	v_mul_f32_e64 v51, -v157, s6                               // 000000009394: D1050033 20000D9D
	v_mul_f32_e64 v52, -v158, s6                               // 00000000939C: D1050034 20000D9E
	v_mul_f32_e64 v53, -v159, s6                               // 0000000093A4: D1050035 20000D9F
	v_exp_f32_e32 v50, v50                                     // 0000000093AC: 7E644132
	v_exp_f32_e32 v51, v51                                     // 0000000093B0: 7E664133
	v_exp_f32_e32 v52, v52                                     // 0000000093B4: 7E684134
	v_exp_f32_e32 v53, v53                                     // 0000000093B8: 7E6A4135
	buffer_load_dwordx4 a[60:63], v43, s[12:15], 0 offen       // 0000000093BC: E05C1000 80833C2B
	s_add_u32 s12, s78, s12                                    // 0000000093C4: 800C0C4E
	s_addc_u32 s13, 0, s13                                     // 0000000093C8: 820D0D80
	v_add_f32_e64 v50, v50, 1.0                                // 0000000093CC: D1010032 0001E532
	v_add_f32_e64 v51, v51, 1.0                                // 0000000093D4: D1010033 0001E533
	v_add_f32_e64 v52, v52, 1.0                                // 0000000093DC: D1010034 0001E534
	v_add_f32_e64 v53, v53, 1.0                                // 0000000093E4: D1010035 0001E535
	v_rcp_f32_e32 v50, v50                                     // 0000000093EC: 7E644532
	v_rcp_f32_e32 v51, v51                                     // 0000000093F0: 7E664533
	v_rcp_f32_e32 v52, v52                                     // 0000000093F4: 7E684534
	v_rcp_f32_e32 v53, v53                                     // 0000000093F8: 7E6A4535
	v_mul_f32_e32 v156, v156, v50                              // 0000000093FC: 0B38659C
	v_mul_f32_e32 v157, v157, v51                              // 000000009400: 0B3A679D
	v_mul_f32_e32 v158, v158, v52                              // 000000009404: 0B3C699E
	v_mul_f32_e32 v159, v159, v53                              // 000000009408: 0B3E6B9F
	v_mul_f32_e32 v156, v156, v92                              // 00000000940C: 0B38B99C
	v_mul_f32_e32 v157, v157, v93                              // 000000009410: 0B3ABB9D
	v_mul_f32_e32 v158, v158, v94                              // 000000009414: 0B3CBD9E
	v_mul_f32_e32 v159, v159, v95                              // 000000009418: 0B3EBF9F
	s_waitcnt vmcnt(20)                                        // 00000000941C: BF8C4F74
	buffer_load_dwordx4 a[64:67], v40, s[12:15], 0 offen       // 000000009420: E05C1000 80834028
	v_mul_f32_e64 v50, -v160, s6                               // 000000009428: D1050032 20000DA0
	v_mul_f32_e64 v51, -v161, s6                               // 000000009430: D1050033 20000DA1
	v_mul_f32_e64 v52, -v162, s6                               // 000000009438: D1050034 20000DA2
	v_mul_f32_e64 v53, -v163, s6                               // 000000009440: D1050035 20000DA3
	v_exp_f32_e32 v50, v50                                     // 000000009448: 7E644132
	v_exp_f32_e32 v51, v51                                     // 00000000944C: 7E664133
	v_exp_f32_e32 v52, v52                                     // 000000009450: 7E684134
	v_exp_f32_e32 v53, v53                                     // 000000009454: 7E6A4135
	buffer_load_dwordx4 a[68:71], v41, s[12:15], 0 offen       // 000000009458: E05C1000 80834429
	v_add_f32_e64 v50, v50, 1.0                                // 000000009460: D1010032 0001E532
	v_add_f32_e64 v51, v51, 1.0                                // 000000009468: D1010033 0001E533
	v_add_f32_e64 v52, v52, 1.0                                // 000000009470: D1010034 0001E534
	v_add_f32_e64 v53, v53, 1.0                                // 000000009478: D1010035 0001E535
	v_rcp_f32_e32 v50, v50                                     // 000000009480: 7E644532
	v_rcp_f32_e32 v51, v51                                     // 000000009484: 7E664533
	v_rcp_f32_e32 v52, v52                                     // 000000009488: 7E684534
	v_rcp_f32_e32 v53, v53                                     // 00000000948C: 7E6A4535
	v_mul_f32_e32 v160, v160, v50                              // 000000009490: 0B4065A0
	v_mul_f32_e32 v161, v161, v51                              // 000000009494: 0B4267A1
	v_mul_f32_e32 v162, v162, v52                              // 000000009498: 0B4469A2
	v_mul_f32_e32 v163, v163, v53                              // 00000000949C: 0B466BA3
	v_mul_f32_e32 v160, v160, v96                              // 0000000094A0: 0B40C1A0
	v_mul_f32_e32 v161, v161, v97                              // 0000000094A4: 0B42C3A1
	v_mul_f32_e32 v162, v162, v98                              // 0000000094A8: 0B44C5A2
	v_mul_f32_e32 v163, v163, v99                              // 0000000094AC: 0B46C7A3
	buffer_load_dwordx4 a[72:75], v42, s[12:15], 0 offen       // 0000000094B0: E05C1000 8083482A
	v_mul_f32_e64 v50, -v164, s6                               // 0000000094B8: D1050032 20000DA4
	v_mul_f32_e64 v51, -v165, s6                               // 0000000094C0: D1050033 20000DA5
	v_mul_f32_e64 v52, -v166, s6                               // 0000000094C8: D1050034 20000DA6
	v_mul_f32_e64 v53, -v167, s6                               // 0000000094D0: D1050035 20000DA7
	v_exp_f32_e32 v50, v50                                     // 0000000094D8: 7E644132
	v_exp_f32_e32 v51, v51                                     // 0000000094DC: 7E664133
	v_exp_f32_e32 v52, v52                                     // 0000000094E0: 7E684134
	v_exp_f32_e32 v53, v53                                     // 0000000094E4: 7E6A4135
	buffer_load_dwordx4 a[76:79], v43, s[12:15], 0 offen       // 0000000094E8: E05C1000 80834C2B
	s_add_u32 s12, s78, s12                                    // 0000000094F0: 800C0C4E
	s_addc_u32 s13, 0, s13                                     // 0000000094F4: 820D0D80
	v_add_f32_e64 v50, v50, 1.0                                // 0000000094F8: D1010032 0001E532
	v_add_f32_e64 v51, v51, 1.0                                // 000000009500: D1010033 0001E533
	v_add_f32_e64 v52, v52, 1.0                                // 000000009508: D1010034 0001E534
	v_add_f32_e64 v53, v53, 1.0                                // 000000009510: D1010035 0001E535
	v_rcp_f32_e32 v50, v50                                     // 000000009518: 7E644532
	v_rcp_f32_e32 v51, v51                                     // 00000000951C: 7E664533
	v_rcp_f32_e32 v52, v52                                     // 000000009520: 7E684534
	v_rcp_f32_e32 v53, v53                                     // 000000009524: 7E6A4535
	v_mul_f32_e32 v164, v164, v50                              // 000000009528: 0B4865A4
	v_mul_f32_e32 v165, v165, v51                              // 00000000952C: 0B4A67A5
	v_mul_f32_e32 v166, v166, v52                              // 000000009530: 0B4C69A6
	v_mul_f32_e32 v167, v167, v53                              // 000000009534: 0B4E6BA7
	v_mul_f32_e32 v164, v164, v100                             // 000000009538: 0B48C9A4
	v_mul_f32_e32 v165, v165, v101                             // 00000000953C: 0B4ACBA5
	v_mul_f32_e32 v166, v166, v102                             // 000000009540: 0B4CCDA6
	v_mul_f32_e32 v167, v167, v103                             // 000000009544: 0B4ECFA7
	s_waitcnt vmcnt(20)                                        // 000000009548: BF8C4F74
	buffer_load_dwordx4 a[80:83], v40, s[12:15], 0 offen       // 00000000954C: E05C1000 80835028
	v_mul_f32_e64 v50, -v168, s6                               // 000000009554: D1050032 20000DA8
	v_mul_f32_e64 v51, -v169, s6                               // 00000000955C: D1050033 20000DA9
	v_mul_f32_e64 v52, -v170, s6                               // 000000009564: D1050034 20000DAA
	v_mul_f32_e64 v53, -v171, s6                               // 00000000956C: D1050035 20000DAB
	v_exp_f32_e32 v50, v50                                     // 000000009574: 7E644132
	v_exp_f32_e32 v51, v51                                     // 000000009578: 7E664133
	v_exp_f32_e32 v52, v52                                     // 00000000957C: 7E684134
	v_exp_f32_e32 v53, v53                                     // 000000009580: 7E6A4135
	buffer_load_dwordx4 a[84:87], v41, s[12:15], 0 offen       // 000000009584: E05C1000 80835429
	v_add_f32_e64 v50, v50, 1.0                                // 00000000958C: D1010032 0001E532
	v_add_f32_e64 v51, v51, 1.0                                // 000000009594: D1010033 0001E533
	v_add_f32_e64 v52, v52, 1.0                                // 00000000959C: D1010034 0001E534
	v_add_f32_e64 v53, v53, 1.0                                // 0000000095A4: D1010035 0001E535
	v_rcp_f32_e32 v50, v50                                     // 0000000095AC: 7E644532
	v_rcp_f32_e32 v51, v51                                     // 0000000095B0: 7E664533
	v_rcp_f32_e32 v52, v52                                     // 0000000095B4: 7E684534
	v_rcp_f32_e32 v53, v53                                     // 0000000095B8: 7E6A4535
	v_mul_f32_e32 v168, v168, v50                              // 0000000095BC: 0B5065A8
	v_mul_f32_e32 v169, v169, v51                              // 0000000095C0: 0B5267A9
	v_mul_f32_e32 v170, v170, v52                              // 0000000095C4: 0B5469AA
	v_mul_f32_e32 v171, v171, v53                              // 0000000095C8: 0B566BAB
	v_mul_f32_e32 v168, v168, v104                             // 0000000095CC: 0B50D1A8
	v_mul_f32_e32 v169, v169, v105                             // 0000000095D0: 0B52D3A9
	v_mul_f32_e32 v170, v170, v106                             // 0000000095D4: 0B54D5AA
	v_mul_f32_e32 v171, v171, v107                             // 0000000095D8: 0B56D7AB
	buffer_load_dwordx4 a[88:91], v42, s[12:15], 0 offen       // 0000000095DC: E05C1000 8083582A
	v_mul_f32_e64 v50, -v172, s6                               // 0000000095E4: D1050032 20000DAC
	v_mul_f32_e64 v51, -v173, s6                               // 0000000095EC: D1050033 20000DAD
	v_mul_f32_e64 v52, -v174, s6                               // 0000000095F4: D1050034 20000DAE
	v_mul_f32_e64 v53, -v175, s6                               // 0000000095FC: D1050035 20000DAF
	v_exp_f32_e32 v50, v50                                     // 000000009604: 7E644132
	v_exp_f32_e32 v51, v51                                     // 000000009608: 7E664133
	v_exp_f32_e32 v52, v52                                     // 00000000960C: 7E684134
	v_exp_f32_e32 v53, v53                                     // 000000009610: 7E6A4135
	buffer_load_dwordx4 a[92:95], v43, s[12:15], 0 offen       // 000000009614: E05C1000 80835C2B
	v_add_f32_e64 v50, v50, 1.0                                // 00000000961C: D1010032 0001E532
	v_add_f32_e64 v51, v51, 1.0                                // 000000009624: D1010033 0001E533
	v_add_f32_e64 v52, v52, 1.0                                // 00000000962C: D1010034 0001E534
	v_add_f32_e64 v53, v53, 1.0                                // 000000009634: D1010035 0001E535
	v_rcp_f32_e32 v50, v50                                     // 00000000963C: 7E644532
	v_rcp_f32_e32 v51, v51                                     // 000000009640: 7E664533
	v_rcp_f32_e32 v52, v52                                     // 000000009644: 7E684534
	v_rcp_f32_e32 v53, v53                                     // 000000009648: 7E6A4535
	v_mul_f32_e32 v172, v172, v50                              // 00000000964C: 0B5865AC
	v_mul_f32_e32 v173, v173, v51                              // 000000009650: 0B5A67AD
	v_mul_f32_e32 v174, v174, v52                              // 000000009654: 0B5C69AE
	v_mul_f32_e32 v175, v175, v53                              // 000000009658: 0B5E6BAF
	v_mul_f32_e32 v172, v172, v108                             // 00000000965C: 0B58D9AC
	v_mul_f32_e32 v173, v173, v109                             // 000000009660: 0B5ADBAD
	v_mul_f32_e32 v174, v174, v110                             // 000000009664: 0B5CDDAE
	v_mul_f32_e32 v175, v175, v111                             // 000000009668: 0B5EDFAF
	v_mul_f32_dpp v128, v18, v128 row_newbcast:0 row_mask:0xf bank_mask:0xf// 00000000966C: 0B0100FA FF015012
	v_mul_f32_dpp v129, v18, v129 row_newbcast:1 row_mask:0xf bank_mask:0xf// 000000009674: 0B0302FA FF015112
	v_mul_f32_dpp v130, v18, v130 row_newbcast:2 row_mask:0xf bank_mask:0xf// 00000000967C: 0B0504FA FF015212
	v_mul_f32_dpp v131, v18, v131 row_newbcast:3 row_mask:0xf bank_mask:0xf// 000000009684: 0B0706FA FF015312
	v_mul_f32_dpp v132, v18, v132 row_newbcast:0 row_mask:0xf bank_mask:0xf// 00000000968C: 0B0908FA FF015012
	v_mul_f32_dpp v133, v18, v133 row_newbcast:1 row_mask:0xf bank_mask:0xf// 000000009694: 0B0B0AFA FF015112
	v_mul_f32_dpp v134, v18, v134 row_newbcast:2 row_mask:0xf bank_mask:0xf// 00000000969C: 0B0D0CFA FF015212
	v_mul_f32_dpp v135, v18, v135 row_newbcast:3 row_mask:0xf bank_mask:0xf// 0000000096A4: 0B0F0EFA FF015312
	v_mul_f32_dpp v136, v18, v136 row_newbcast:4 row_mask:0xf bank_mask:0xf// 0000000096AC: 0B1110FA FF015412
	v_mul_f32_dpp v137, v18, v137 row_newbcast:5 row_mask:0xf bank_mask:0xf// 0000000096B4: 0B1312FA FF015512
	v_mul_f32_dpp v138, v18, v138 row_newbcast:6 row_mask:0xf bank_mask:0xf// 0000000096BC: 0B1514FA FF015612
	v_mul_f32_dpp v139, v18, v139 row_newbcast:7 row_mask:0xf bank_mask:0xf// 0000000096C4: 0B1716FA FF015712
	v_mul_f32_dpp v140, v18, v140 row_newbcast:4 row_mask:0xf bank_mask:0xf// 0000000096CC: 0B1918FA FF015412
	v_mul_f32_dpp v141, v18, v141 row_newbcast:5 row_mask:0xf bank_mask:0xf// 0000000096D4: 0B1B1AFA FF015512
	v_mul_f32_dpp v142, v18, v142 row_newbcast:6 row_mask:0xf bank_mask:0xf// 0000000096DC: 0B1D1CFA FF015612
	v_mul_f32_dpp v143, v18, v143 row_newbcast:7 row_mask:0xf bank_mask:0xf// 0000000096E4: 0B1F1EFA FF015712
	v_mul_f32_dpp v144, v18, v144 row_newbcast:8 row_mask:0xf bank_mask:0xf// 0000000096EC: 0B2120FA FF015812
	v_mul_f32_dpp v145, v18, v145 row_newbcast:9 row_mask:0xf bank_mask:0xf// 0000000096F4: 0B2322FA FF015912
	v_mul_f32_dpp v146, v18, v146 row_newbcast:10 row_mask:0xf bank_mask:0xf// 0000000096FC: 0B2524FA FF015A12
	v_mul_f32_dpp v147, v18, v147 row_newbcast:11 row_mask:0xf bank_mask:0xf// 000000009704: 0B2726FA FF015B12
	v_mul_f32_dpp v148, v18, v148 row_newbcast:8 row_mask:0xf bank_mask:0xf// 00000000970C: 0B2928FA FF015812
	v_mul_f32_dpp v149, v18, v149 row_newbcast:9 row_mask:0xf bank_mask:0xf// 000000009714: 0B2B2AFA FF015912
	v_mul_f32_dpp v150, v18, v150 row_newbcast:10 row_mask:0xf bank_mask:0xf// 00000000971C: 0B2D2CFA FF015A12
	v_mul_f32_dpp v151, v18, v151 row_newbcast:11 row_mask:0xf bank_mask:0xf// 000000009724: 0B2F2EFA FF015B12
	v_mul_f32_dpp v152, v18, v152 row_newbcast:12 row_mask:0xf bank_mask:0xf// 00000000972C: 0B3130FA FF015C12
	v_mul_f32_dpp v153, v18, v153 row_newbcast:13 row_mask:0xf bank_mask:0xf// 000000009734: 0B3332FA FF015D12
	v_mul_f32_dpp v154, v18, v154 row_newbcast:14 row_mask:0xf bank_mask:0xf// 00000000973C: 0B3534FA FF015E12
	v_mul_f32_dpp v155, v18, v155 row_newbcast:15 row_mask:0xf bank_mask:0xf// 000000009744: 0B3736FA FF015F12
	v_mul_f32_dpp v156, v18, v156 row_newbcast:12 row_mask:0xf bank_mask:0xf// 00000000974C: 0B3938FA FF015C12
	v_mul_f32_dpp v157, v18, v157 row_newbcast:13 row_mask:0xf bank_mask:0xf// 000000009754: 0B3B3AFA FF015D12
	v_mul_f32_dpp v158, v18, v158 row_newbcast:14 row_mask:0xf bank_mask:0xf// 00000000975C: 0B3D3CFA FF015E12
	v_mul_f32_dpp v159, v18, v159 row_newbcast:15 row_mask:0xf bank_mask:0xf// 000000009764: 0B3F3EFA FF015F12
	v_mul_f32_dpp v160, v19, v160 row_newbcast:0 row_mask:0xf bank_mask:0xf// 00000000976C: 0B4140FA FF015013
	v_mul_f32_dpp v161, v19, v161 row_newbcast:1 row_mask:0xf bank_mask:0xf// 000000009774: 0B4342FA FF015113
	v_mul_f32_dpp v162, v19, v162 row_newbcast:2 row_mask:0xf bank_mask:0xf// 00000000977C: 0B4544FA FF015213
	v_mul_f32_dpp v163, v19, v163 row_newbcast:3 row_mask:0xf bank_mask:0xf// 000000009784: 0B4746FA FF015313
	v_mul_f32_dpp v164, v19, v164 row_newbcast:0 row_mask:0xf bank_mask:0xf// 00000000978C: 0B4948FA FF015013
	v_mul_f32_dpp v165, v19, v165 row_newbcast:1 row_mask:0xf bank_mask:0xf// 000000009794: 0B4B4AFA FF015113
	v_mul_f32_dpp v166, v19, v166 row_newbcast:2 row_mask:0xf bank_mask:0xf// 00000000979C: 0B4D4CFA FF015213
	v_mul_f32_dpp v167, v19, v167 row_newbcast:3 row_mask:0xf bank_mask:0xf// 0000000097A4: 0B4F4EFA FF015313
	v_mul_f32_dpp v168, v19, v168 row_newbcast:4 row_mask:0xf bank_mask:0xf// 0000000097AC: 0B5150FA FF015413
	v_mul_f32_dpp v169, v19, v169 row_newbcast:5 row_mask:0xf bank_mask:0xf// 0000000097B4: 0B5352FA FF015513
	v_mul_f32_dpp v170, v19, v170 row_newbcast:6 row_mask:0xf bank_mask:0xf// 0000000097BC: 0B5554FA FF015613
	v_mul_f32_dpp v171, v19, v171 row_newbcast:7 row_mask:0xf bank_mask:0xf// 0000000097C4: 0B5756FA FF015713
	v_mul_f32_dpp v172, v19, v172 row_newbcast:4 row_mask:0xf bank_mask:0xf// 0000000097CC: 0B5958FA FF015413
	v_mul_f32_dpp v173, v19, v173 row_newbcast:5 row_mask:0xf bank_mask:0xf// 0000000097D4: 0B5B5AFA FF015513
	v_mul_f32_dpp v174, v19, v174 row_newbcast:6 row_mask:0xf bank_mask:0xf// 0000000097DC: 0B5D5CFA FF015613
	v_mul_f32_dpp v175, v19, v175 row_newbcast:7 row_mask:0xf bank_mask:0xf// 0000000097E4: 0B5F5EFA FF015713
	v_lshlrev_b32_e32 v50, 2, v0                               // 0000000097EC: 24640082
	s_mul_i32 s60, s82, s71                                    // 0000000097F0: 923C4752
	v_add_u32_e64 v80, v50, s60                                // 0000000097F4: D1340050 00007932
	v_mov_b32_e32 v81, 0                                       // 0000000097FC: 7EA20280
	s_mul_i32 s60, s83, s71                                    // 000000009800: 923C4753
	v_add_u32_e64 v82, v50, s60                                // 000000009804: D1340052 00007932
	v_mov_b32_e32 v83, 0                                       // 00000000980C: 7EA60280
	s_mul_i32 s60, s84, s71                                    // 000000009810: 923C4754
	v_add_u32_e64 v84, v50, s60                                // 000000009814: D1340054 00007932
	v_mov_b32_e32 v85, 0                                       // 00000000981C: 7EAA0280
	s_mul_i32 s60, s85, s71                                    // 000000009820: 923C4755
	v_add_u32_e64 v86, v50, s60                                // 000000009824: D1340056 00007932
	v_mov_b32_e32 v87, 0                                       // 00000000982C: 7EAE0280
	s_mul_i32 s60, s86, s71                                    // 000000009830: 923C4756
	v_add_u32_e64 v88, v50, s60                                // 000000009834: D1340058 00007932
	v_mov_b32_e32 v89, 0                                       // 00000000983C: 7EB20280
	s_mul_i32 s60, s87, s71                                    // 000000009840: 923C4757
	v_add_u32_e64 v90, v50, s60                                // 000000009844: D134005A 00007932
	v_mov_b32_e32 v91, 0                                       // 00000000984C: 7EB60280
	s_mul_i32 s60, s88, s71                                    // 000000009850: 923C4758
	v_add_u32_e64 v92, v50, s60                                // 000000009854: D134005C 00007932
	v_mov_b32_e32 v93, 0                                       // 00000000985C: 7EBA0280
	s_mul_i32 s60, s89, s71                                    // 000000009860: 923C4759
	v_add_u32_e64 v94, v50, s60                                // 000000009864: D134005E 00007932
	v_mov_b32_e32 v95, 0                                       // 00000000986C: 7EBE0280
	buffer_load_dword v12, v5, s[16:19], 0 offen               // 000000009870: E0501000 80040C05
	v_mov_b32_e32 v22, 0x358637bd                              // 000000009878: 7E2C02FF 358637BD
	v_mov_b32_e32 v23, 0x358637bd                              // 000000009880: 7E2E02FF 358637BD
	v_max3_f32 v22, |v128|, |v129|, v22                        // 000000009888: D1D30316 045B0380
	v_max3_f32 v22, |v130|, |v131|, v22                        // 000000009890: D1D30316 045B0782
	v_max3_f32 v23, |v132|, |v133|, v23                        // 000000009898: D1D30317 045F0B84
	v_max3_f32 v23, |v134|, |v135|, v23                        // 0000000098A0: D1D30317 045F0F86
	v_max3_f32 v22, |v136|, |v137|, v22                        // 0000000098A8: D1D30316 045B1388
	v_max3_f32 v22, |v138|, |v139|, v22                        // 0000000098B0: D1D30316 045B178A
	v_max3_f32 v23, |v140|, |v141|, v23                        // 0000000098B8: D1D30317 045F1B8C
	v_max3_f32 v23, |v142|, |v143|, v23                        // 0000000098C0: D1D30317 045F1F8E
	v_max3_f32 v22, |v144|, |v145|, v22                        // 0000000098C8: D1D30316 045B2390
	v_max3_f32 v22, |v146|, |v147|, v22                        // 0000000098D0: D1D30316 045B2792
	v_max3_f32 v23, |v148|, |v149|, v23                        // 0000000098D8: D1D30317 045F2B94
	v_max3_f32 v23, |v150|, |v151|, v23                        // 0000000098E0: D1D30317 045F2F96
	v_max3_f32 v22, |v152|, |v153|, v22                        // 0000000098E8: D1D30316 045B3398
	v_max3_f32 v22, |v154|, |v155|, v22                        // 0000000098F0: D1D30316 045B379A
	v_max3_f32 v23, |v156|, |v157|, v23                        // 0000000098F8: D1D30317 045F3B9C
	v_max3_f32 v23, |v158|, |v159|, v23                        // 000000009900: D1D30317 045F3F9E
	v_max3_f32 v22, |v160|, |v161|, v22                        // 000000009908: D1D30316 045B43A0
	v_max3_f32 v22, |v162|, |v163|, v22                        // 000000009910: D1D30316 045B47A2
	v_max3_f32 v23, |v164|, |v165|, v23                        // 000000009918: D1D30317 045F4BA4
	v_max3_f32 v23, |v166|, |v167|, v23                        // 000000009920: D1D30317 045F4FA6
	v_max3_f32 v22, |v168|, |v169|, v22                        // 000000009928: D1D30316 045B53A8
	v_max3_f32 v22, |v170|, |v171|, v22                        // 000000009930: D1D30316 045B57AA
	v_max3_f32 v23, |v172|, |v173|, v23                        // 000000009938: D1D30317 045F5BAC
	v_max3_f32 v23, |v174|, |v175|, v23                        // 000000009940: D1D30317 045F5FAE
	v_lshlrev_b32_e32 v50, 3, v0                               // 000000009948: 24640083
	s_mul_i32 s60, 0x200, s7                                   // 00000000994C: 923C07FF 00000200
	v_add_u32_e32 v50, s60, v50                                // 000000009954: 6864643C
	ds_write_b64 v50, v[22:23] offset:16640                    // 000000009958: D89A4100 00001632
	s_waitcnt lgkmcnt(0)                                       // 000000009960: BF8CC07F
	s_barrier                                                  // 000000009964: BF8A0000
	v_and_b32_e32 v50, 15, v0                                  // 000000009968: 2664008F
	v_lshlrev_b32_e32 v50, 3, v50                              // 00000000996C: 24646483
	ds_read_b64 v[96:97], v50 offset:16640                     // 000000009970: D8EC4100 60000032
	ds_read_b64 v[98:99], v50 offset:16768                     // 000000009978: D8EC4180 62000032
	ds_read_b64 v[100:101], v50 offset:16896                   // 000000009980: D8EC4200 64000032
	ds_read_b64 v[102:103], v50 offset:17024                   // 000000009988: D8EC4280 66000032
	ds_read_b64 v[104:105], v50 offset:17152                   // 000000009990: D8EC4300 68000032
	ds_read_b64 v[106:107], v50 offset:17280                   // 000000009998: D8EC4380 6A000032
	ds_read_b64 v[108:109], v50 offset:17408                   // 0000000099A0: D8EC4400 6C000032
	ds_read_b64 v[110:111], v50 offset:17536                   // 0000000099A8: D8EC4480 6E000032
	ds_read_b64 v[112:113], v50 offset:17664                   // 0000000099B0: D8EC4500 70000032
	ds_read_b64 v[114:115], v50 offset:17792                   // 0000000099B8: D8EC4580 72000032
	ds_read_b64 v[116:117], v50 offset:17920                   // 0000000099C0: D8EC4600 74000032
	ds_read_b64 v[118:119], v50 offset:18048                   // 0000000099C8: D8EC4680 76000032
	ds_read_b64 v[120:121], v50 offset:18176                   // 0000000099D0: D8EC4700 78000032
	ds_read_b64 v[122:123], v50 offset:18304                   // 0000000099D8: D8EC4780 7A000032
	ds_read_b64 v[124:125], v50 offset:18432                   // 0000000099E0: D8EC4800 7C000032
	ds_read_b64 v[126:127], v50 offset:18560                   // 0000000099E8: D8EC4880 7E000032
	s_waitcnt lgkmcnt(0)                                       // 0000000099F0: BF8CC07F
	v_max3_f32 v22, |v96|, |v98|, v22                          // 0000000099F4: D1D30316 045AC560
	v_max3_f32 v23, |v97|, |v99|, v23                          // 0000000099FC: D1D30317 045EC761
	v_max3_f32 v22, |v100|, |v102|, v22                        // 000000009A04: D1D30316 045ACD64
	v_max3_f32 v23, |v101|, |v103|, v23                        // 000000009A0C: D1D30317 045ECF65
	v_max3_f32 v22, |v104|, |v106|, v22                        // 000000009A14: D1D30316 045AD568
	v_max3_f32 v23, |v105|, |v107|, v23                        // 000000009A1C: D1D30317 045ED769
	v_max3_f32 v22, |v108|, |v110|, v22                        // 000000009A24: D1D30316 045ADD6C
	v_max3_f32 v23, |v109|, |v111|, v23                        // 000000009A2C: D1D30317 045EDF6D
	v_max3_f32 v22, |v112|, |v114|, v22                        // 000000009A34: D1D30316 045AE570
	v_max3_f32 v23, |v113|, |v115|, v23                        // 000000009A3C: D1D30317 045EE771
	v_max3_f32 v22, |v116|, |v118|, v22                        // 000000009A44: D1D30316 045AED74
	v_max3_f32 v23, |v117|, |v119|, v23                        // 000000009A4C: D1D30317 045EEF75
	v_max3_f32 v22, |v120|, |v122|, v22                        // 000000009A54: D1D30316 045AF578
	v_max3_f32 v23, |v121|, |v123|, v23                        // 000000009A5C: D1D30317 045EF779
	v_max3_f32 v22, |v124|, |v126|, v22                        // 000000009A64: D1D30316 045AFD7C
	v_max3_f32 v23, |v125|, |v127|, v23                        // 000000009A6C: D1D30317 045EFF7D
	v_rcp_f32_e32 v22, v22                                     // 000000009A74: 7E2C4516
	v_rcp_f32_e32 v23, v23                                     // 000000009A78: 7E2E4517
	v_mul_f32_e32 v22, 0x42fe0000, v22                         // 000000009A7C: 0A2C2CFF 42FE0000
	v_mul_f32_e32 v23, 0x42fe0000, v23                         // 000000009A84: 0A2E2EFF 42FE0000
	v_mul_f32_e32 v128, v22, v128                              // 000000009A8C: 0B010116
	v_mul_f32_e32 v129, v22, v129                              // 000000009A90: 0B030316
	v_mul_f32_e32 v130, v22, v130                              // 000000009A94: 0B050516
	v_mul_f32_e32 v131, v22, v131                              // 000000009A98: 0B070716
	v_cvt_i32_f32_e32 v128, v128                               // 000000009A9C: 7F001180
	v_cvt_i32_f32_e32 v129, v129                               // 000000009AA0: 7F021181
	v_cvt_i32_f32_e32 v130, v130                               // 000000009AA4: 7F041182
	v_cvt_i32_f32_e32 v131, v131                               // 000000009AA8: 7F061183
	v_perm_b32 v128, v129, v128, s53                           // 000000009AAC: D1ED0080 00D70181
	v_perm_b32 v128, v130, v128, s54                           // 000000009AB4: D1ED0080 00DB0182
	v_perm_b32 v128, v131, v128, s55                           // 000000009ABC: D1ED0080 00DF0183
	v_mul_f32_e32 v132, v23, v132                              // 000000009AC4: 0B090917
	v_mul_f32_e32 v133, v23, v133                              // 000000009AC8: 0B0B0B17
	v_mul_f32_e32 v134, v23, v134                              // 000000009ACC: 0B0D0D17
	v_mul_f32_e32 v135, v23, v135                              // 000000009AD0: 0B0F0F17
	v_cvt_i32_f32_e32 v132, v132                               // 000000009AD4: 7F081184
	v_cvt_i32_f32_e32 v133, v133                               // 000000009AD8: 7F0A1185
	v_cvt_i32_f32_e32 v134, v134                               // 000000009ADC: 7F0C1186
	v_cvt_i32_f32_e32 v135, v135                               // 000000009AE0: 7F0E1187
	v_perm_b32 v129, v133, v132, s53                           // 000000009AE4: D1ED0081 00D70985
	v_perm_b32 v129, v134, v129, s54                           // 000000009AEC: D1ED0081 00DB0386
	v_perm_b32 v129, v135, v129, s55                           // 000000009AF4: D1ED0081 00DF0387
	v_mul_f32_e32 v136, v22, v136                              // 000000009AFC: 0B111116
	v_mul_f32_e32 v137, v22, v137                              // 000000009B00: 0B131316
	v_mul_f32_e32 v138, v22, v138                              // 000000009B04: 0B151516
	v_mul_f32_e32 v139, v22, v139                              // 000000009B08: 0B171716
	v_cvt_i32_f32_e32 v136, v136                               // 000000009B0C: 7F101188
	v_cvt_i32_f32_e32 v137, v137                               // 000000009B10: 7F121189
	v_cvt_i32_f32_e32 v138, v138                               // 000000009B14: 7F14118A
	v_cvt_i32_f32_e32 v139, v139                               // 000000009B18: 7F16118B
	v_perm_b32 v130, v137, v136, s53                           // 000000009B1C: D1ED0082 00D71189
	v_perm_b32 v130, v138, v130, s54                           // 000000009B24: D1ED0082 00DB058A
	v_perm_b32 v130, v139, v130, s55                           // 000000009B2C: D1ED0082 00DF058B
	v_mul_f32_e32 v140, v23, v140                              // 000000009B34: 0B191917
	v_mul_f32_e32 v141, v23, v141                              // 000000009B38: 0B1B1B17
	v_mul_f32_e32 v142, v23, v142                              // 000000009B3C: 0B1D1D17
	v_mul_f32_e32 v143, v23, v143                              // 000000009B40: 0B1F1F17
	v_cvt_i32_f32_e32 v140, v140                               // 000000009B44: 7F18118C
	v_cvt_i32_f32_e32 v141, v141                               // 000000009B48: 7F1A118D
	v_cvt_i32_f32_e32 v142, v142                               // 000000009B4C: 7F1C118E
	v_cvt_i32_f32_e32 v143, v143                               // 000000009B50: 7F1E118F
	v_perm_b32 v131, v141, v140, s53                           // 000000009B54: D1ED0083 00D7198D
	v_perm_b32 v131, v142, v131, s54                           // 000000009B5C: D1ED0083 00DB078E
	v_perm_b32 v131, v143, v131, s55                           // 000000009B64: D1ED0083 00DF078F
	v_mul_f32_e32 v144, v22, v144                              // 000000009B6C: 0B212116
	v_mul_f32_e32 v145, v22, v145                              // 000000009B70: 0B232316
	v_mul_f32_e32 v146, v22, v146                              // 000000009B74: 0B252516
	v_mul_f32_e32 v147, v22, v147                              // 000000009B78: 0B272716
	v_cvt_i32_f32_e32 v144, v144                               // 000000009B7C: 7F201190
	v_cvt_i32_f32_e32 v145, v145                               // 000000009B80: 7F221191
	v_cvt_i32_f32_e32 v146, v146                               // 000000009B84: 7F241192
	v_cvt_i32_f32_e32 v147, v147                               // 000000009B88: 7F261193
	v_perm_b32 v132, v145, v144, s53                           // 000000009B8C: D1ED0084 00D72191
	v_perm_b32 v132, v146, v132, s54                           // 000000009B94: D1ED0084 00DB0992
	v_perm_b32 v132, v147, v132, s55                           // 000000009B9C: D1ED0084 00DF0993
	v_mul_f32_e32 v148, v23, v148                              // 000000009BA4: 0B292917
	v_mul_f32_e32 v149, v23, v149                              // 000000009BA8: 0B2B2B17
	v_mul_f32_e32 v150, v23, v150                              // 000000009BAC: 0B2D2D17
	v_mul_f32_e32 v151, v23, v151                              // 000000009BB0: 0B2F2F17
	v_cvt_i32_f32_e32 v148, v148                               // 000000009BB4: 7F281194
	v_cvt_i32_f32_e32 v149, v149                               // 000000009BB8: 7F2A1195
	v_cvt_i32_f32_e32 v150, v150                               // 000000009BBC: 7F2C1196
	v_cvt_i32_f32_e32 v151, v151                               // 000000009BC0: 7F2E1197
	v_perm_b32 v133, v149, v148, s53                           // 000000009BC4: D1ED0085 00D72995
	v_perm_b32 v133, v150, v133, s54                           // 000000009BCC: D1ED0085 00DB0B96
	v_perm_b32 v133, v151, v133, s55                           // 000000009BD4: D1ED0085 00DF0B97
	v_mul_f32_e32 v152, v22, v152                              // 000000009BDC: 0B313116
	v_mul_f32_e32 v153, v22, v153                              // 000000009BE0: 0B333316
	v_mul_f32_e32 v154, v22, v154                              // 000000009BE4: 0B353516
	v_mul_f32_e32 v155, v22, v155                              // 000000009BE8: 0B373716
	v_cvt_i32_f32_e32 v152, v152                               // 000000009BEC: 7F301198
	v_cvt_i32_f32_e32 v153, v153                               // 000000009BF0: 7F321199
	v_cvt_i32_f32_e32 v154, v154                               // 000000009BF4: 7F34119A
	v_cvt_i32_f32_e32 v155, v155                               // 000000009BF8: 7F36119B
	v_perm_b32 v134, v153, v152, s53                           // 000000009BFC: D1ED0086 00D73199
	v_perm_b32 v134, v154, v134, s54                           // 000000009C04: D1ED0086 00DB0D9A
	v_perm_b32 v134, v155, v134, s55                           // 000000009C0C: D1ED0086 00DF0D9B
	v_mul_f32_e32 v156, v23, v156                              // 000000009C14: 0B393917
	v_mul_f32_e32 v157, v23, v157                              // 000000009C18: 0B3B3B17
	v_mul_f32_e32 v158, v23, v158                              // 000000009C1C: 0B3D3D17
	v_mul_f32_e32 v159, v23, v159                              // 000000009C20: 0B3F3F17
	v_cvt_i32_f32_e32 v156, v156                               // 000000009C24: 7F38119C
	v_cvt_i32_f32_e32 v157, v157                               // 000000009C28: 7F3A119D
	v_cvt_i32_f32_e32 v158, v158                               // 000000009C2C: 7F3C119E
	v_cvt_i32_f32_e32 v159, v159                               // 000000009C30: 7F3E119F
	v_perm_b32 v135, v157, v156, s53                           // 000000009C34: D1ED0087 00D7399D
	v_perm_b32 v135, v158, v135, s54                           // 000000009C3C: D1ED0087 00DB0F9E
	v_perm_b32 v135, v159, v135, s55                           // 000000009C44: D1ED0087 00DF0F9F
	v_mul_f32_e32 v160, v22, v160                              // 000000009C4C: 0B414116
	v_mul_f32_e32 v161, v22, v161                              // 000000009C50: 0B434316
	v_mul_f32_e32 v162, v22, v162                              // 000000009C54: 0B454516
	v_mul_f32_e32 v163, v22, v163                              // 000000009C58: 0B474716
	v_cvt_i32_f32_e32 v160, v160                               // 000000009C5C: 7F4011A0
	v_cvt_i32_f32_e32 v161, v161                               // 000000009C60: 7F4211A1
	v_cvt_i32_f32_e32 v162, v162                               // 000000009C64: 7F4411A2
	v_cvt_i32_f32_e32 v163, v163                               // 000000009C68: 7F4611A3
	v_perm_b32 v136, v161, v160, s53                           // 000000009C6C: D1ED0088 00D741A1
	v_perm_b32 v136, v162, v136, s54                           // 000000009C74: D1ED0088 00DB11A2
	v_perm_b32 v136, v163, v136, s55                           // 000000009C7C: D1ED0088 00DF11A3
	v_mul_f32_e32 v164, v23, v164                              // 000000009C84: 0B494917
	v_mul_f32_e32 v165, v23, v165                              // 000000009C88: 0B4B4B17
	v_mul_f32_e32 v166, v23, v166                              // 000000009C8C: 0B4D4D17
	v_mul_f32_e32 v167, v23, v167                              // 000000009C90: 0B4F4F17
	v_cvt_i32_f32_e32 v164, v164                               // 000000009C94: 7F4811A4
	v_cvt_i32_f32_e32 v165, v165                               // 000000009C98: 7F4A11A5
	v_cvt_i32_f32_e32 v166, v166                               // 000000009C9C: 7F4C11A6
	v_cvt_i32_f32_e32 v167, v167                               // 000000009CA0: 7F4E11A7
	v_perm_b32 v137, v165, v164, s53                           // 000000009CA4: D1ED0089 00D749A5
	v_perm_b32 v137, v166, v137, s54                           // 000000009CAC: D1ED0089 00DB13A6
	v_perm_b32 v137, v167, v137, s55                           // 000000009CB4: D1ED0089 00DF13A7
	v_mul_f32_e32 v168, v22, v168                              // 000000009CBC: 0B515116
	v_mul_f32_e32 v169, v22, v169                              // 000000009CC0: 0B535316
	v_mul_f32_e32 v170, v22, v170                              // 000000009CC4: 0B555516
	v_mul_f32_e32 v171, v22, v171                              // 000000009CC8: 0B575716
	v_cvt_i32_f32_e32 v168, v168                               // 000000009CCC: 7F5011A8
	v_cvt_i32_f32_e32 v169, v169                               // 000000009CD0: 7F5211A9
	v_cvt_i32_f32_e32 v170, v170                               // 000000009CD4: 7F5411AA
	v_cvt_i32_f32_e32 v171, v171                               // 000000009CD8: 7F5611AB
	v_perm_b32 v138, v169, v168, s53                           // 000000009CDC: D1ED008A 00D751A9
	v_perm_b32 v138, v170, v138, s54                           // 000000009CE4: D1ED008A 00DB15AA
	v_perm_b32 v138, v171, v138, s55                           // 000000009CEC: D1ED008A 00DF15AB
	v_mul_f32_e32 v172, v23, v172                              // 000000009CF4: 0B595917
	v_mul_f32_e32 v173, v23, v173                              // 000000009CF8: 0B5B5B17
	v_mul_f32_e32 v174, v23, v174                              // 000000009CFC: 0B5D5D17
	v_mul_f32_e32 v175, v23, v175                              // 000000009D00: 0B5F5F17
	v_cvt_i32_f32_e32 v172, v172                               // 000000009D04: 7F5811AC
	v_cvt_i32_f32_e32 v173, v173                               // 000000009D08: 7F5A11AD
	v_cvt_i32_f32_e32 v174, v174                               // 000000009D0C: 7F5C11AE
	v_cvt_i32_f32_e32 v175, v175                               // 000000009D10: 7F5E11AF
	v_perm_b32 v139, v173, v172, s53                           // 000000009D14: D1ED008B 00D759AD
	v_perm_b32 v139, v174, v139, s54                           // 000000009D1C: D1ED008B 00DB17AE
	v_perm_b32 v139, v175, v139, s55                           // 000000009D24: D1ED008B 00DF17AF
	v_rcp_f32_e32 v24, v22                                     // 000000009D2C: 7E304516
	v_rcp_f32_e32 v25, v23                                     // 000000009D30: 7E324517
	v_lshrrev_b32_e32 v50, 5, v0                               // 000000009D34: 20640085
	v_lshlrev_b32_e32 v51, 5, v50                              // 000000009D38: 24666485
	v_and_b32_e32 v50, 31, v0                                  // 000000009D3C: 2664009F
	v_lshrrev_b32_e32 v52, 4, v50                              // 000000009D40: 20686484
	v_add_u32_e32 v51, v52, v51                                // 000000009D44: 68666734
	v_and_b32_e32 v50, 15, v0                                  // 000000009D48: 2664008F
	v_lshlrev_b32_e32 v50, 1, v50                              // 000000009D4C: 24646481
	v_add_u32_e32 v51, v50, v51                                // 000000009D50: 68666732
	v_lshlrev_b32_e32 v50, 2, v51                              // 000000009D54: 24646682
	s_mul_i32 s60, 0x100, s7                                   // 000000009D58: 923C07FF 00000100
	v_add_u32_e64 v50, v50, s60                                // 000000009D60: D1340032 00007932
	ds_write_b32 v50, v128 offset:18688                        // 000000009D68: D81A4900 00008032
	ds_write_b32 v50, v129 offset:24832                        // 000000009D70: D81A6100 00008132
	ds_write_b32 v50, v130 offset:19712                        // 000000009D78: D81A4D00 00008232
	ds_write_b32 v50, v131 offset:25856                        // 000000009D80: D81A6500 00008332
	ds_write_b32 v50, v132 offset:20736                        // 000000009D88: D81A5100 00008432
	ds_write_b32 v50, v133 offset:26880                        // 000000009D90: D81A6900 00008532
	ds_write_b32 v50, v134 offset:21760                        // 000000009D98: D81A5500 00008632
	ds_write_b32 v50, v135 offset:27904                        // 000000009DA0: D81A6D00 00008732
	ds_write_b32 v50, v136 offset:22784                        // 000000009DA8: D81A5900 00008832
	ds_write_b32 v50, v137 offset:28928                        // 000000009DB0: D81A7100 00008932
	ds_write_b32 v50, v138 offset:23808                        // 000000009DB8: D81A5D00 00008A32
	ds_write_b32 v50, v139 offset:29952                        // 000000009DC0: D81A7500 00008B32
	s_waitcnt lgkmcnt(0)                                       // 000000009DC8: BF8CC07F
	s_barrier                                                  // 000000009DCC: BF8A0000
	v_lshrrev_b32_e32 v50, 4, v0                               // 000000009DD0: 20640084
	v_lshlrev_b32_e32 v51, 6, v50                              // 000000009DD4: 24666486
	v_and_b32_e32 v50, 15, v0                                  // 000000009DD8: 2664008F
	v_lshlrev_b32_e32 v50, 1, v50                              // 000000009DDC: 24646481
	v_add_u32_e32 v51, v50, v51                                // 000000009DE0: 68666732
	v_lshlrev_b32_e32 v50, 2, v51                              // 000000009DE4: 24646682
	ds_read_b64 v[128:129], v50 offset:18688                   // 000000009DE8: D8EC4900 80000032
	ds_read_b64 v[130:131], v50 offset:18816                   // 000000009DF0: D8EC4980 82000032
	ds_read_b64 v[132:133], v50 offset:19712                   // 000000009DF8: D8EC4D00 84000032
	ds_read_b64 v[134:135], v50 offset:19840                   // 000000009E00: D8EC4D80 86000032
	ds_read_b64 v[136:137], v50 offset:20736                   // 000000009E08: D8EC5100 88000032
	ds_read_b64 v[138:139], v50 offset:20864                   // 000000009E10: D8EC5180 8A000032
	ds_read_b64 v[140:141], v50 offset:21760                   // 000000009E18: D8EC5500 8C000032
	ds_read_b64 v[142:143], v50 offset:21888                   // 000000009E20: D8EC5580 8E000032
	ds_read_b64 v[144:145], v50 offset:22784                   // 000000009E28: D8EC5900 90000032
	ds_read_b64 v[146:147], v50 offset:22912                   // 000000009E30: D8EC5980 92000032
	ds_read_b64 v[148:149], v50 offset:23808                   // 000000009E38: D8EC5D00 94000032
	ds_read_b64 v[150:151], v50 offset:23936                   // 000000009E40: D8EC5D80 96000032
	ds_read_b64 v[152:153], v50 offset:24832                   // 000000009E48: D8EC6100 98000032
	ds_read_b64 v[154:155], v50 offset:24960                   // 000000009E50: D8EC6180 9A000032
	ds_read_b64 v[156:157], v50 offset:25856                   // 000000009E58: D8EC6500 9C000032
	ds_read_b64 v[158:159], v50 offset:25984                   // 000000009E60: D8EC6580 9E000032
	ds_read_b64 v[160:161], v50 offset:26880                   // 000000009E68: D8EC6900 A0000032
	ds_read_b64 v[162:163], v50 offset:27008                   // 000000009E70: D8EC6980 A2000032
	ds_read_b64 v[164:165], v50 offset:27904                   // 000000009E78: D8EC6D00 A4000032
	ds_read_b64 v[166:167], v50 offset:28032                   // 000000009E80: D8EC6D80 A6000032
	ds_read_b64 v[168:169], v50 offset:28928                   // 000000009E88: D8EC7100 A8000032
	ds_read_b64 v[170:171], v50 offset:29056                   // 000000009E90: D8EC7180 AA000032
	ds_read_b64 v[172:173], v50 offset:29952                   // 000000009E98: D8EC7500 AC000032
	ds_read_b64 v[174:175], v50 offset:30080                   // 000000009EA0: D8EC7580 AE000032
	s_add_u32 s12, s56, s12                                    // 000000009EA8: 800C0C38
	s_addc_u32 s13, 0, s13                                     // 000000009EAC: 820D0D80
	s_add_u32 s16, s79, s16                                    // 000000009EB0: 8010104F
	s_addc_u32 s17, 0, s17                                     // 000000009EB4: 82111180
	s_mov_b32 s80, 0                                           // 000000009EB8: BED00080
	s_waitcnt vmcnt(0) expcnt(0) lgkmcnt(0)                    // 000000009EBC: BF8C0000

0000000000009ec0 <label_1C30>:
	s_waitcnt vmcnt(37)                                        // 000000009EC0: BF8C8F75
	s_barrier                                                  // 000000009EC4: BF8A0000
	v_mfma_i32_16x16x32_i8 v[176:179], a[0:1], v[128:129], 0   // 000000009EC8: D3D700B0 0A030100
	buffer_load_dwordx4 a[96:99], v40, s[12:15], 0 offen       // 000000009ED0: E05C1000 80836028
	v_mfma_i32_16x16x32_i8 v[176:179], a[2:3], v[130:131], v[176:179]// 000000009ED8: D3D700B0 0EC30502
	v_mfma_i32_16x16x32_i8 v[180:183], a[0:1], v[152:153], 0   // 000000009EE0: D3D700B4 0A033100
	v_mfma_i32_16x16x32_i8 v[180:183], a[2:3], v[154:155], v[180:183]// 000000009EE8: D3D700B4 0ED33502
	v_mfma_i32_16x16x32_i8 v[184:187], a[4:5], v[128:129], 0   // 000000009EF0: D3D700B8 0A030104
	buffer_load_dwordx4 a[100:103], v41, s[12:15], 0 offen     // 000000009EF8: E05C1000 80836429
	v_mfma_i32_16x16x32_i8 v[184:187], a[6:7], v[130:131], v[184:187]// 000000009F00: D3D700B8 0EE30506
	v_mfma_i32_16x16x32_i8 v[188:191], a[4:5], v[152:153], 0   // 000000009F08: D3D700BC 0A033104
	v_mfma_i32_16x16x32_i8 v[188:191], a[6:7], v[154:155], v[188:191]// 000000009F10: D3D700BC 0EF33506
	v_mfma_i32_16x16x32_i8 v[192:195], a[8:9], v[128:129], 0   // 000000009F18: D3D700C0 0A030108
	buffer_load_dwordx4 a[104:107], v42, s[12:15], 0 offen     // 000000009F20: E05C1000 8083682A
	v_mfma_i32_16x16x32_i8 v[192:195], a[10:11], v[130:131], v[192:195]// 000000009F28: D3D700C0 0F03050A
	v_mfma_i32_16x16x32_i8 v[196:199], a[8:9], v[152:153], 0   // 000000009F30: D3D700C4 0A033108
	v_mfma_i32_16x16x32_i8 v[196:199], a[10:11], v[154:155], v[196:199]// 000000009F38: D3D700C4 0F13350A
	v_mfma_i32_16x16x32_i8 v[200:203], a[12:13], v[128:129], 0 // 000000009F40: D3D700C8 0A03010C
	buffer_load_dwordx4 a[108:111], v43, s[12:15], 0 offen     // 000000009F48: E05C1000 80836C2B
	s_add_u32 s12, s78, s12                                    // 000000009F50: 800C0C4E
	s_addc_u32 s13, 0, s13                                     // 000000009F54: 820D0D80
	v_mfma_i32_16x16x32_i8 v[200:203], a[14:15], v[130:131], v[200:203]// 000000009F58: D3D700C8 0F23050E
	v_mfma_i32_16x16x32_i8 v[204:207], a[12:13], v[152:153], 0 // 000000009F60: D3D700CC 0A03310C
	v_mfma_i32_16x16x32_i8 v[204:207], a[14:15], v[154:155], v[204:207]// 000000009F68: D3D700CC 0F33350E
	s_waitcnt vmcnt(37)                                        // 000000009F70: BF8C8F75
	v_mfma_i32_16x16x32_i8 v[176:179], a[16:17], v[132:133], v[176:179]// 000000009F74: D3D700B0 0EC30910
	buffer_load_dwordx4 a[112:115], v40, s[12:15], 0 offen     // 000000009F7C: E05C1000 80837028
	v_mfma_i32_16x16x32_i8 v[176:179], a[18:19], v[134:135], v[176:179]// 000000009F84: D3D700B0 0EC30D12
	v_mfma_i32_16x16x32_i8 v[180:183], a[16:17], v[156:157], v[180:183]// 000000009F8C: D3D700B4 0ED33910
	v_mfma_i32_16x16x32_i8 v[180:183], a[18:19], v[158:159], v[180:183]// 000000009F94: D3D700B4 0ED33D12
	v_mfma_i32_16x16x32_i8 v[184:187], a[20:21], v[132:133], v[184:187]// 000000009F9C: D3D700B8 0EE30914
	buffer_load_dwordx4 a[116:119], v41, s[12:15], 0 offen     // 000000009FA4: E05C1000 80837429
	v_mfma_i32_16x16x32_i8 v[184:187], a[22:23], v[134:135], v[184:187]// 000000009FAC: D3D700B8 0EE30D16
	v_mfma_i32_16x16x32_i8 v[188:191], a[20:21], v[156:157], v[188:191]// 000000009FB4: D3D700BC 0EF33914
	v_mfma_i32_16x16x32_i8 v[188:191], a[22:23], v[158:159], v[188:191]// 000000009FBC: D3D700BC 0EF33D16
	v_mfma_i32_16x16x32_i8 v[192:195], a[24:25], v[132:133], v[192:195]// 000000009FC4: D3D700C0 0F030918
	buffer_load_dwordx4 a[120:123], v42, s[12:15], 0 offen     // 000000009FCC: E05C1000 8083782A
	v_mfma_i32_16x16x32_i8 v[192:195], a[26:27], v[134:135], v[192:195]// 000000009FD4: D3D700C0 0F030D1A
	v_mfma_i32_16x16x32_i8 v[196:199], a[24:25], v[156:157], v[196:199]// 000000009FDC: D3D700C4 0F133918
	v_mfma_i32_16x16x32_i8 v[196:199], a[26:27], v[158:159], v[196:199]// 000000009FE4: D3D700C4 0F133D1A
	v_mfma_i32_16x16x32_i8 v[200:203], a[28:29], v[132:133], v[200:203]// 000000009FEC: D3D700C8 0F23091C
	buffer_load_dwordx4 a[124:127], v43, s[12:15], 0 offen     // 000000009FF4: E05C1000 80837C2B
	s_add_u32 s12, s78, s12                                    // 000000009FFC: 800C0C4E
	s_addc_u32 s13, 0, s13                                     // 00000000A000: 820D0D80
	v_mfma_i32_16x16x32_i8 v[200:203], a[30:31], v[134:135], v[200:203]// 00000000A004: D3D700C8 0F230D1E
	v_mfma_i32_16x16x32_i8 v[204:207], a[28:29], v[156:157], v[204:207]// 00000000A00C: D3D700CC 0F33391C
	v_mfma_i32_16x16x32_i8 v[204:207], a[30:31], v[158:159], v[204:207]// 00000000A014: D3D700CC 0F333D1E
	s_waitcnt vmcnt(37)                                        // 00000000A01C: BF8C8F75
	v_mfma_i32_16x16x32_i8 v[176:179], a[32:33], v[136:137], v[176:179]// 00000000A020: D3D700B0 0EC31120
	buffer_load_dwordx4 a[128:131], v40, s[12:15], 0 offen     // 00000000A028: E05C1000 80838028
	v_mfma_i32_16x16x32_i8 v[176:179], a[34:35], v[138:139], v[176:179]// 00000000A030: D3D700B0 0EC31522
	v_mfma_i32_16x16x32_i8 v[180:183], a[32:33], v[160:161], v[180:183]// 00000000A038: D3D700B4 0ED34120
	v_mfma_i32_16x16x32_i8 v[180:183], a[34:35], v[162:163], v[180:183]// 00000000A040: D3D700B4 0ED34522
	v_mfma_i32_16x16x32_i8 v[184:187], a[36:37], v[136:137], v[184:187]// 00000000A048: D3D700B8 0EE31124
	buffer_load_dwordx4 a[132:135], v41, s[12:15], 0 offen     // 00000000A050: E05C1000 80838429
	v_mfma_i32_16x16x32_i8 v[184:187], a[38:39], v[138:139], v[184:187]// 00000000A058: D3D700B8 0EE31526
	v_mfma_i32_16x16x32_i8 v[188:191], a[36:37], v[160:161], v[188:191]// 00000000A060: D3D700BC 0EF34124
	v_mfma_i32_16x16x32_i8 v[188:191], a[38:39], v[162:163], v[188:191]// 00000000A068: D3D700BC 0EF34526
	v_mfma_i32_16x16x32_i8 v[192:195], a[40:41], v[136:137], v[192:195]// 00000000A070: D3D700C0 0F031128
	buffer_load_dwordx4 a[136:139], v42, s[12:15], 0 offen     // 00000000A078: E05C1000 8083882A
	v_mfma_i32_16x16x32_i8 v[192:195], a[42:43], v[138:139], v[192:195]// 00000000A080: D3D700C0 0F03152A
	v_mfma_i32_16x16x32_i8 v[196:199], a[40:41], v[160:161], v[196:199]// 00000000A088: D3D700C4 0F134128
	v_mfma_i32_16x16x32_i8 v[196:199], a[42:43], v[162:163], v[196:199]// 00000000A090: D3D700C4 0F13452A
	v_mfma_i32_16x16x32_i8 v[200:203], a[44:45], v[136:137], v[200:203]// 00000000A098: D3D700C8 0F23112C
	buffer_load_dwordx4 a[140:143], v43, s[12:15], 0 offen     // 00000000A0A0: E05C1000 80838C2B
	s_add_u32 s12, s78, s12                                    // 00000000A0A8: 800C0C4E
	s_addc_u32 s13, 0, s13                                     // 00000000A0AC: 820D0D80
	v_mfma_i32_16x16x32_i8 v[200:203], a[46:47], v[138:139], v[200:203]// 00000000A0B0: D3D700C8 0F23152E
	v_mfma_i32_16x16x32_i8 v[204:207], a[44:45], v[160:161], v[204:207]// 00000000A0B8: D3D700CC 0F33412C
	v_mfma_i32_16x16x32_i8 v[204:207], a[46:47], v[162:163], v[204:207]// 00000000A0C0: D3D700CC 0F33452E
	s_waitcnt vmcnt(37)                                        // 00000000A0C8: BF8C8F75
	v_mfma_i32_16x16x32_i8 v[176:179], a[48:49], v[140:141], v[176:179]// 00000000A0CC: D3D700B0 0EC31930
	buffer_load_dwordx4 a[144:147], v40, s[12:15], 0 offen     // 00000000A0D4: E05C1000 80839028
	v_mfma_i32_16x16x32_i8 v[176:179], a[50:51], v[142:143], v[176:179]// 00000000A0DC: D3D700B0 0EC31D32
	v_mfma_i32_16x16x32_i8 v[180:183], a[48:49], v[164:165], v[180:183]// 00000000A0E4: D3D700B4 0ED34930
	v_mfma_i32_16x16x32_i8 v[180:183], a[50:51], v[166:167], v[180:183]// 00000000A0EC: D3D700B4 0ED34D32
	v_mfma_i32_16x16x32_i8 v[184:187], a[52:53], v[140:141], v[184:187]// 00000000A0F4: D3D700B8 0EE31934
	buffer_load_dwordx4 a[148:151], v41, s[12:15], 0 offen     // 00000000A0FC: E05C1000 80839429
	v_mfma_i32_16x16x32_i8 v[184:187], a[54:55], v[142:143], v[184:187]// 00000000A104: D3D700B8 0EE31D36
	v_mfma_i32_16x16x32_i8 v[188:191], a[52:53], v[164:165], v[188:191]// 00000000A10C: D3D700BC 0EF34934
	v_mfma_i32_16x16x32_i8 v[188:191], a[54:55], v[166:167], v[188:191]// 00000000A114: D3D700BC 0EF34D36
	v_mfma_i32_16x16x32_i8 v[192:195], a[56:57], v[140:141], v[192:195]// 00000000A11C: D3D700C0 0F031938
	buffer_load_dwordx4 a[152:155], v42, s[12:15], 0 offen     // 00000000A124: E05C1000 8083982A
	v_mfma_i32_16x16x32_i8 v[192:195], a[58:59], v[142:143], v[192:195]// 00000000A12C: D3D700C0 0F031D3A
	v_mfma_i32_16x16x32_i8 v[196:199], a[56:57], v[164:165], v[196:199]// 00000000A134: D3D700C4 0F134938
	v_mfma_i32_16x16x32_i8 v[196:199], a[58:59], v[166:167], v[196:199]// 00000000A13C: D3D700C4 0F134D3A
	v_mfma_i32_16x16x32_i8 v[200:203], a[60:61], v[140:141], v[200:203]// 00000000A144: D3D700C8 0F23193C
	buffer_load_dwordx4 a[156:159], v43, s[12:15], 0 offen     // 00000000A14C: E05C1000 80839C2B
	s_add_u32 s12, s78, s12                                    // 00000000A154: 800C0C4E
	s_addc_u32 s13, 0, s13                                     // 00000000A158: 820D0D80
	v_mfma_i32_16x16x32_i8 v[200:203], a[62:63], v[142:143], v[200:203]// 00000000A15C: D3D700C8 0F231D3E
	v_mfma_i32_16x16x32_i8 v[204:207], a[60:61], v[164:165], v[204:207]// 00000000A164: D3D700CC 0F33493C
	v_mfma_i32_16x16x32_i8 v[204:207], a[62:63], v[166:167], v[204:207]// 00000000A16C: D3D700CC 0F334D3E
	s_waitcnt vmcnt(37)                                        // 00000000A174: BF8C8F75
	v_mfma_i32_16x16x32_i8 v[176:179], a[64:65], v[144:145], v[176:179]// 00000000A178: D3D700B0 0EC32140
	buffer_load_dwordx4 a[160:163], v40, s[12:15], 0 offen     // 00000000A180: E05C1000 8083A028
	v_mfma_i32_16x16x32_i8 v[176:179], a[66:67], v[146:147], v[176:179]// 00000000A188: D3D700B0 0EC32542
	v_mfma_i32_16x16x32_i8 v[180:183], a[64:65], v[168:169], v[180:183]// 00000000A190: D3D700B4 0ED35140
	v_mfma_i32_16x16x32_i8 v[180:183], a[66:67], v[170:171], v[180:183]// 00000000A198: D3D700B4 0ED35542
	v_mfma_i32_16x16x32_i8 v[184:187], a[68:69], v[144:145], v[184:187]// 00000000A1A0: D3D700B8 0EE32144
	buffer_load_dwordx4 a[164:167], v41, s[12:15], 0 offen     // 00000000A1A8: E05C1000 8083A429
	v_mfma_i32_16x16x32_i8 v[184:187], a[70:71], v[146:147], v[184:187]// 00000000A1B0: D3D700B8 0EE32546
	v_mfma_i32_16x16x32_i8 v[188:191], a[68:69], v[168:169], v[188:191]// 00000000A1B8: D3D700BC 0EF35144
	v_mfma_i32_16x16x32_i8 v[188:191], a[70:71], v[170:171], v[188:191]// 00000000A1C0: D3D700BC 0EF35546
	v_mfma_i32_16x16x32_i8 v[192:195], a[72:73], v[144:145], v[192:195]// 00000000A1C8: D3D700C0 0F032148
	buffer_load_dwordx4 a[168:171], v42, s[12:15], 0 offen     // 00000000A1D0: E05C1000 8083A82A
	v_mfma_i32_16x16x32_i8 v[192:195], a[74:75], v[146:147], v[192:195]// 00000000A1D8: D3D700C0 0F03254A
	v_mfma_i32_16x16x32_i8 v[196:199], a[72:73], v[168:169], v[196:199]// 00000000A1E0: D3D700C4 0F135148
	v_mfma_i32_16x16x32_i8 v[196:199], a[74:75], v[170:171], v[196:199]// 00000000A1E8: D3D700C4 0F13554A
	v_mfma_i32_16x16x32_i8 v[200:203], a[76:77], v[144:145], v[200:203]// 00000000A1F0: D3D700C8 0F23214C
	buffer_load_dwordx4 a[172:175], v43, s[12:15], 0 offen     // 00000000A1F8: E05C1000 8083AC2B
	s_add_u32 s12, s78, s12                                    // 00000000A200: 800C0C4E
	s_addc_u32 s13, 0, s13                                     // 00000000A204: 820D0D80
	v_mfma_i32_16x16x32_i8 v[200:203], a[78:79], v[146:147], v[200:203]// 00000000A208: D3D700C8 0F23254E
	v_mfma_i32_16x16x32_i8 v[204:207], a[76:77], v[168:169], v[204:207]// 00000000A210: D3D700CC 0F33514C
	v_mfma_i32_16x16x32_i8 v[204:207], a[78:79], v[170:171], v[204:207]// 00000000A218: D3D700CC 0F33554E
	s_waitcnt vmcnt(36)                                        // 00000000A220: BF8C8F74
	v_mfma_i32_16x16x32_i8 v[176:179], a[80:81], v[148:149], v[176:179]// 00000000A224: D3D700B0 0EC32950
	buffer_load_dwordx4 a[176:179], v40, s[12:15], 0 offen     // 00000000A22C: E05C1000 8083B028
	v_mfma_i32_16x16x32_i8 v[176:179], a[82:83], v[150:151], v[176:179]// 00000000A234: D3D700B0 0EC32D52
	v_mfma_i32_16x16x32_i8 v[180:183], a[80:81], v[172:173], v[180:183]// 00000000A23C: D3D700B4 0ED35950
	buffer_load_dword v13, v5, s[16:19], 0 offen               // 00000000A244: E0501000 80040D05
	v_mfma_i32_16x16x32_i8 v[180:183], a[82:83], v[174:175], v[180:183]// 00000000A24C: D3D700B4 0ED35D52
	v_mfma_i32_16x16x32_i8 v[184:187], a[84:85], v[148:149], v[184:187]// 00000000A254: D3D700B8 0EE32954
	buffer_load_dwordx4 a[180:183], v41, s[12:15], 0 offen     // 00000000A25C: E05C1000 8083B429
	v_mfma_i32_16x16x32_i8 v[184:187], a[86:87], v[150:151], v[184:187]// 00000000A264: D3D700B8 0EE32D56
	v_mfma_i32_16x16x32_i8 v[188:191], a[84:85], v[172:173], v[188:191]// 00000000A26C: D3D700BC 0EF35954
	v_mfma_i32_16x16x32_i8 v[188:191], a[86:87], v[174:175], v[188:191]// 00000000A274: D3D700BC 0EF35D56
	v_mfma_i32_16x16x32_i8 v[192:195], a[88:89], v[148:149], v[192:195]// 00000000A27C: D3D700C0 0F032958
	buffer_load_dwordx4 a[184:187], v42, s[12:15], 0 offen     // 00000000A284: E05C1000 8083B82A
	v_mfma_i32_16x16x32_i8 v[192:195], a[90:91], v[150:151], v[192:195]// 00000000A28C: D3D700C0 0F032D5A
	v_mfma_i32_16x16x32_i8 v[196:199], a[88:89], v[172:173], v[196:199]// 00000000A294: D3D700C4 0F135958
	v_mfma_i32_16x16x32_i8 v[196:199], a[90:91], v[174:175], v[196:199]// 00000000A29C: D3D700C4 0F135D5A
	v_mfma_i32_16x16x32_i8 v[200:203], a[92:93], v[148:149], v[200:203]// 00000000A2A4: D3D700C8 0F23295C
	buffer_load_dwordx4 a[188:191], v43, s[12:15], 0 offen     // 00000000A2AC: E05C1000 8083BC2B
	v_mfma_i32_16x16x32_i8 v[200:203], a[94:95], v[150:151], v[200:203]// 00000000A2B4: D3D700C8 0F232D5E
	v_mfma_i32_16x16x32_i8 v[204:207], a[92:93], v[172:173], v[204:207]// 00000000A2BC: D3D700CC 0F33595C
	v_mfma_i32_16x16x32_i8 v[204:207], a[94:95], v[174:175], v[204:207]// 00000000A2C4: D3D700CC 0F335D5E
	s_add_u32 s60, 0x200, s80                                  // 00000000A2CC: 803C50FF 00000200
	s_cmp_lt_u32 s60, s81                                      // 00000000A2D4: BF0A513C
	s_cselect_b32 s56, s56, 0                                  // 00000000A2D8: 85388038
	s_cselect_b32 s78, s78, 0                                  // 00000000A2DC: 854E804E
	s_cselect_b32 s79, s79, 0                                  // 00000000A2E0: 854F804F
	s_add_u32 s12, s56, s12                                    // 00000000A2E4: 800C0C38
	s_addc_u32 s13, 0, s13                                     // 00000000A2E8: 820D0D80
	s_add_u32 s16, s79, s16                                    // 00000000A2EC: 8010104F
	s_addc_u32 s17, 0, s17                                     // 00000000A2F0: 82111180
	v_cvt_f32_i32_e32 v176, v176                               // 00000000A2F4: 7F600BB0
	v_cvt_f32_i32_e32 v177, v177                               // 00000000A2F8: 7F620BB1
	v_cvt_f32_i32_e32 v178, v178                               // 00000000A2FC: 7F640BB2
	v_cvt_f32_i32_e32 v179, v179                               // 00000000A300: 7F660BB3
	v_mul_f32_e32 v176, v24, v176                              // 00000000A304: 0B616118
	v_mul_f32_e32 v177, v24, v177                              // 00000000A308: 0B636318
	v_mul_f32_e32 v178, v24, v178                              // 00000000A30C: 0B656518
	v_mul_f32_e32 v179, v24, v179                              // 00000000A310: 0B676718
	v_mul_f32_dpp v176, v12, v176 row_newbcast:0 row_mask:0xf bank_mask:0xf// 00000000A314: 0B6160FA FF01500C
	v_mul_f32_dpp v177, v12, v177 row_newbcast:1 row_mask:0xf bank_mask:0xf// 00000000A31C: 0B6362FA FF01510C
	v_mul_f32_dpp v178, v12, v178 row_newbcast:2 row_mask:0xf bank_mask:0xf// 00000000A324: 0B6564FA FF01520C
	v_mul_f32_dpp v179, v12, v179 row_newbcast:3 row_mask:0xf bank_mask:0xf// 00000000A32C: 0B6766FA FF01530C
	v_mul_f32_e32 v176, v20, v176                              // 00000000A334: 0B616114
	v_mul_f32_e32 v177, v20, v177                              // 00000000A338: 0B636314
	v_mul_f32_e32 v178, v20, v178                              // 00000000A33C: 0B656514
	v_mul_f32_e32 v179, v20, v179                              // 00000000A340: 0B676714
	v_cvt_f32_i32_e32 v180, v180                               // 00000000A344: 7F680BB4
	v_cvt_f32_i32_e32 v181, v181                               // 00000000A348: 7F6A0BB5
	v_cvt_f32_i32_e32 v182, v182                               // 00000000A34C: 7F6C0BB6
	v_cvt_f32_i32_e32 v183, v183                               // 00000000A350: 7F6E0BB7
	v_mul_f32_e32 v180, v25, v180                              // 00000000A354: 0B696919
	v_mul_f32_e32 v181, v25, v181                              // 00000000A358: 0B6B6B19
	v_mul_f32_e32 v182, v25, v182                              // 00000000A35C: 0B6D6D19
	v_mul_f32_e32 v183, v25, v183                              // 00000000A360: 0B6F6F19
	v_mul_f32_dpp v180, v12, v180 row_newbcast:0 row_mask:0xf bank_mask:0xf// 00000000A364: 0B6968FA FF01500C
	v_mul_f32_dpp v181, v12, v181 row_newbcast:1 row_mask:0xf bank_mask:0xf// 00000000A36C: 0B6B6AFA FF01510C
	v_mul_f32_dpp v182, v12, v182 row_newbcast:2 row_mask:0xf bank_mask:0xf// 00000000A374: 0B6D6CFA FF01520C
	v_mul_f32_dpp v183, v12, v183 row_newbcast:3 row_mask:0xf bank_mask:0xf// 00000000A37C: 0B6F6EFA FF01530C
	v_mul_f32_e32 v180, v21, v180                              // 00000000A384: 0B696915
	v_mul_f32_e32 v181, v21, v181                              // 00000000A388: 0B6B6B15
	v_mul_f32_e32 v182, v21, v182                              // 00000000A38C: 0B6D6D15
	v_mul_f32_e32 v183, v21, v183                              // 00000000A390: 0B6F6F15
	v_cvt_f32_i32_e32 v184, v184                               // 00000000A394: 7F700BB8
	v_cvt_f32_i32_e32 v185, v185                               // 00000000A398: 7F720BB9
	v_cvt_f32_i32_e32 v186, v186                               // 00000000A39C: 7F740BBA
	v_cvt_f32_i32_e32 v187, v187                               // 00000000A3A0: 7F760BBB
	v_mul_f32_e32 v184, v24, v184                              // 00000000A3A4: 0B717118
	v_mul_f32_e32 v185, v24, v185                              // 00000000A3A8: 0B737318
	v_mul_f32_e32 v186, v24, v186                              // 00000000A3AC: 0B757518
	v_mul_f32_e32 v187, v24, v187                              // 00000000A3B0: 0B777718
	v_mul_f32_dpp v184, v12, v184 row_newbcast:4 row_mask:0xf bank_mask:0xf// 00000000A3B4: 0B7170FA FF01540C
	v_mul_f32_dpp v185, v12, v185 row_newbcast:5 row_mask:0xf bank_mask:0xf// 00000000A3BC: 0B7372FA FF01550C
	v_mul_f32_dpp v186, v12, v186 row_newbcast:6 row_mask:0xf bank_mask:0xf// 00000000A3C4: 0B7574FA FF01560C
	v_mul_f32_dpp v187, v12, v187 row_newbcast:7 row_mask:0xf bank_mask:0xf// 00000000A3CC: 0B7776FA FF01570C
	v_mul_f32_e32 v184, v20, v184                              // 00000000A3D4: 0B717114
	v_mul_f32_e32 v185, v20, v185                              // 00000000A3D8: 0B737314
	v_mul_f32_e32 v186, v20, v186                              // 00000000A3DC: 0B757514
	v_mul_f32_e32 v187, v20, v187                              // 00000000A3E0: 0B777714
	v_cvt_f32_i32_e32 v188, v188                               // 00000000A3E4: 7F780BBC
	v_cvt_f32_i32_e32 v189, v189                               // 00000000A3E8: 7F7A0BBD
	v_cvt_f32_i32_e32 v190, v190                               // 00000000A3EC: 7F7C0BBE
	v_cvt_f32_i32_e32 v191, v191                               // 00000000A3F0: 7F7E0BBF
	v_mul_f32_e32 v188, v25, v188                              // 00000000A3F4: 0B797919
	v_mul_f32_e32 v189, v25, v189                              // 00000000A3F8: 0B7B7B19
	v_mul_f32_e32 v190, v25, v190                              // 00000000A3FC: 0B7D7D19
	v_mul_f32_e32 v191, v25, v191                              // 00000000A400: 0B7F7F19
	v_mul_f32_dpp v188, v12, v188 row_newbcast:4 row_mask:0xf bank_mask:0xf// 00000000A404: 0B7978FA FF01540C
	v_mul_f32_dpp v189, v12, v189 row_newbcast:5 row_mask:0xf bank_mask:0xf// 00000000A40C: 0B7B7AFA FF01550C
	v_mul_f32_dpp v190, v12, v190 row_newbcast:6 row_mask:0xf bank_mask:0xf// 00000000A414: 0B7D7CFA FF01560C
	v_mul_f32_dpp v191, v12, v191 row_newbcast:7 row_mask:0xf bank_mask:0xf// 00000000A41C: 0B7F7EFA FF01570C
	v_mul_f32_e32 v188, v21, v188                              // 00000000A424: 0B797915
	v_mul_f32_e32 v189, v21, v189                              // 00000000A428: 0B7B7B15
	v_mul_f32_e32 v190, v21, v190                              // 00000000A42C: 0B7D7D15
	v_mul_f32_e32 v191, v21, v191                              // 00000000A430: 0B7F7F15
	v_cvt_f32_i32_e32 v192, v192                               // 00000000A434: 7F800BC0
	v_cvt_f32_i32_e32 v193, v193                               // 00000000A438: 7F820BC1
	v_cvt_f32_i32_e32 v194, v194                               // 00000000A43C: 7F840BC2
	v_cvt_f32_i32_e32 v195, v195                               // 00000000A440: 7F860BC3
	v_mul_f32_e32 v192, v24, v192                              // 00000000A444: 0B818118
	v_mul_f32_e32 v193, v24, v193                              // 00000000A448: 0B838318
	v_mul_f32_e32 v194, v24, v194                              // 00000000A44C: 0B858518
	v_mul_f32_e32 v195, v24, v195                              // 00000000A450: 0B878718
	v_mul_f32_dpp v192, v12, v192 row_newbcast:8 row_mask:0xf bank_mask:0xf// 00000000A454: 0B8180FA FF01580C
	v_mul_f32_dpp v193, v12, v193 row_newbcast:9 row_mask:0xf bank_mask:0xf// 00000000A45C: 0B8382FA FF01590C
	v_mul_f32_dpp v194, v12, v194 row_newbcast:10 row_mask:0xf bank_mask:0xf// 00000000A464: 0B8584FA FF015A0C
	v_mul_f32_dpp v195, v12, v195 row_newbcast:11 row_mask:0xf bank_mask:0xf// 00000000A46C: 0B8786FA FF015B0C
	v_mul_f32_e32 v192, v20, v192                              // 00000000A474: 0B818114
	v_mul_f32_e32 v193, v20, v193                              // 00000000A478: 0B838314
	v_mul_f32_e32 v194, v20, v194                              // 00000000A47C: 0B858514
	v_mul_f32_e32 v195, v20, v195                              // 00000000A480: 0B878714
	v_cvt_f32_i32_e32 v196, v196                               // 00000000A484: 7F880BC4
	v_cvt_f32_i32_e32 v197, v197                               // 00000000A488: 7F8A0BC5
	v_cvt_f32_i32_e32 v198, v198                               // 00000000A48C: 7F8C0BC6
	v_cvt_f32_i32_e32 v199, v199                               // 00000000A490: 7F8E0BC7
	v_mul_f32_e32 v196, v25, v196                              // 00000000A494: 0B898919
	v_mul_f32_e32 v197, v25, v197                              // 00000000A498: 0B8B8B19
	v_mul_f32_e32 v198, v25, v198                              // 00000000A49C: 0B8D8D19
	v_mul_f32_e32 v199, v25, v199                              // 00000000A4A0: 0B8F8F19
	v_mul_f32_dpp v196, v12, v196 row_newbcast:8 row_mask:0xf bank_mask:0xf// 00000000A4A4: 0B8988FA FF01580C
	v_mul_f32_dpp v197, v12, v197 row_newbcast:9 row_mask:0xf bank_mask:0xf// 00000000A4AC: 0B8B8AFA FF01590C
	v_mul_f32_dpp v198, v12, v198 row_newbcast:10 row_mask:0xf bank_mask:0xf// 00000000A4B4: 0B8D8CFA FF015A0C
	v_mul_f32_dpp v199, v12, v199 row_newbcast:11 row_mask:0xf bank_mask:0xf// 00000000A4BC: 0B8F8EFA FF015B0C
	v_mul_f32_e32 v196, v21, v196                              // 00000000A4C4: 0B898915
	v_mul_f32_e32 v197, v21, v197                              // 00000000A4C8: 0B8B8B15
	v_mul_f32_e32 v198, v21, v198                              // 00000000A4CC: 0B8D8D15
	v_mul_f32_e32 v199, v21, v199                              // 00000000A4D0: 0B8F8F15
	v_cvt_f32_i32_e32 v200, v200                               // 00000000A4D4: 7F900BC8
	v_cvt_f32_i32_e32 v201, v201                               // 00000000A4D8: 7F920BC9
	v_cvt_f32_i32_e32 v202, v202                               // 00000000A4DC: 7F940BCA
	v_cvt_f32_i32_e32 v203, v203                               // 00000000A4E0: 7F960BCB
	v_mul_f32_e32 v200, v24, v200                              // 00000000A4E4: 0B919118
	v_mul_f32_e32 v201, v24, v201                              // 00000000A4E8: 0B939318
	v_mul_f32_e32 v202, v24, v202                              // 00000000A4EC: 0B959518
	v_mul_f32_e32 v203, v24, v203                              // 00000000A4F0: 0B979718
	v_mul_f32_dpp v200, v12, v200 row_newbcast:12 row_mask:0xf bank_mask:0xf// 00000000A4F4: 0B9190FA FF015C0C
	v_mul_f32_dpp v201, v12, v201 row_newbcast:13 row_mask:0xf bank_mask:0xf// 00000000A4FC: 0B9392FA FF015D0C
	v_mul_f32_dpp v202, v12, v202 row_newbcast:14 row_mask:0xf bank_mask:0xf// 00000000A504: 0B9594FA FF015E0C
	v_mul_f32_dpp v203, v12, v203 row_newbcast:15 row_mask:0xf bank_mask:0xf// 00000000A50C: 0B9796FA FF015F0C
	v_mul_f32_e32 v200, v20, v200                              // 00000000A514: 0B919114
	v_mul_f32_e32 v201, v20, v201                              // 00000000A518: 0B939314
	v_mul_f32_e32 v202, v20, v202                              // 00000000A51C: 0B959514
	v_mul_f32_e32 v203, v20, v203                              // 00000000A520: 0B979714
	v_cvt_f32_i32_e32 v204, v204                               // 00000000A524: 7F980BCC
	v_cvt_f32_i32_e32 v205, v205                               // 00000000A528: 7F9A0BCD
	v_cvt_f32_i32_e32 v206, v206                               // 00000000A52C: 7F9C0BCE
	v_cvt_f32_i32_e32 v207, v207                               // 00000000A530: 7F9E0BCF
	v_mul_f32_e32 v204, v25, v204                              // 00000000A534: 0B999919
	v_mul_f32_e32 v205, v25, v205                              // 00000000A538: 0B9B9B19
	v_mul_f32_e32 v206, v25, v206                              // 00000000A53C: 0B9D9D19
	v_mul_f32_e32 v207, v25, v207                              // 00000000A540: 0B9F9F19
	v_mul_f32_dpp v204, v12, v204 row_newbcast:12 row_mask:0xf bank_mask:0xf// 00000000A544: 0B9998FA FF015C0C
	v_mul_f32_dpp v205, v12, v205 row_newbcast:13 row_mask:0xf bank_mask:0xf// 00000000A54C: 0B9B9AFA FF015D0C
	v_mul_f32_dpp v206, v12, v206 row_newbcast:14 row_mask:0xf bank_mask:0xf// 00000000A554: 0B9D9CFA FF015E0C
	v_mul_f32_dpp v207, v12, v207 row_newbcast:15 row_mask:0xf bank_mask:0xf// 00000000A55C: 0B9F9EFA FF015F0C
	v_mul_f32_e32 v204, v21, v204                              // 00000000A564: 0B999915
	v_mul_f32_e32 v205, v21, v205                              // 00000000A568: 0B9B9B15
	v_mul_f32_e32 v206, v21, v206                              // 00000000A56C: 0B9D9D15
	v_mul_f32_e32 v207, v21, v207                              // 00000000A570: 0B9F9F15
	v_cmp_u_f32_e64 s[48:49], v176, v176                       // 00000000A574: D0480030 000361B0
	v_add3_u32 v44, v176, v47, 1                               // 00000000A57C: D1FF002C 02065FB0
	v_cndmask_b32_e64 v50, v44, v46, s[48:49]                  // 00000000A584: D1000032 00C25D2C
	v_cmp_u_f32_e64 s[48:49], v177, v177                       // 00000000A58C: D0480030 000363B1
	v_add3_u32 v44, v177, v47, 1                               // 00000000A594: D1FF002C 02065FB1
	v_cndmask_b32_e64 v51, v44, v46, s[48:49]                  // 00000000A59C: D1000033 00C25D2C
	v_perm_b32 v176, v51, v50, s52                             // 00000000A5A4: D1ED00B0 00D26533
	v_cmp_u_f32_e64 s[48:49], v178, v178                       // 00000000A5AC: D0480030 000365B2
	v_add3_u32 v44, v178, v47, 1                               // 00000000A5B4: D1FF002C 02065FB2
	v_cndmask_b32_e64 v50, v44, v46, s[48:49]                  // 00000000A5BC: D1000032 00C25D2C
	v_cmp_u_f32_e64 s[48:49], v179, v179                       // 00000000A5C4: D0480030 000367B3
	v_add3_u32 v44, v179, v47, 1                               // 00000000A5CC: D1FF002C 02065FB3
	v_cndmask_b32_e64 v51, v44, v46, s[48:49]                  // 00000000A5D4: D1000033 00C25D2C
	v_perm_b32 v177, v51, v50, s52                             // 00000000A5DC: D1ED00B1 00D26533
	v_cmp_u_f32_e64 s[48:49], v180, v180                       // 00000000A5E4: D0480030 000369B4
	v_add3_u32 v44, v180, v47, 1                               // 00000000A5EC: D1FF002C 02065FB4
	v_cndmask_b32_e64 v50, v44, v46, s[48:49]                  // 00000000A5F4: D1000032 00C25D2C
	v_cmp_u_f32_e64 s[48:49], v181, v181                       // 00000000A5FC: D0480030 00036BB5
	v_add3_u32 v44, v181, v47, 1                               // 00000000A604: D1FF002C 02065FB5
	v_cndmask_b32_e64 v51, v44, v46, s[48:49]                  // 00000000A60C: D1000033 00C25D2C
	v_perm_b32 v178, v51, v50, s52                             // 00000000A614: D1ED00B2 00D26533
	v_cmp_u_f32_e64 s[48:49], v182, v182                       // 00000000A61C: D0480030 00036DB6
	v_add3_u32 v44, v182, v47, 1                               // 00000000A624: D1FF002C 02065FB6
	v_cndmask_b32_e64 v50, v44, v46, s[48:49]                  // 00000000A62C: D1000032 00C25D2C
	v_cmp_u_f32_e64 s[48:49], v183, v183                       // 00000000A634: D0480030 00036FB7
	v_add3_u32 v44, v183, v47, 1                               // 00000000A63C: D1FF002C 02065FB7
	v_cndmask_b32_e64 v51, v44, v46, s[48:49]                  // 00000000A644: D1000033 00C25D2C
	v_perm_b32 v179, v51, v50, s52                             // 00000000A64C: D1ED00B3 00D26533
	v_cmp_u_f32_e64 s[48:49], v184, v184                       // 00000000A654: D0480030 000371B8
	v_add3_u32 v44, v184, v47, 1                               // 00000000A65C: D1FF002C 02065FB8
	v_cndmask_b32_e64 v50, v44, v46, s[48:49]                  // 00000000A664: D1000032 00C25D2C
	v_cmp_u_f32_e64 s[48:49], v185, v185                       // 00000000A66C: D0480030 000373B9
	v_add3_u32 v44, v185, v47, 1                               // 00000000A674: D1FF002C 02065FB9
	v_cndmask_b32_e64 v51, v44, v46, s[48:49]                  // 00000000A67C: D1000033 00C25D2C
	v_perm_b32 v180, v51, v50, s52                             // 00000000A684: D1ED00B4 00D26533
	v_cmp_u_f32_e64 s[48:49], v186, v186                       // 00000000A68C: D0480030 000375BA
	v_add3_u32 v44, v186, v47, 1                               // 00000000A694: D1FF002C 02065FBA
	v_cndmask_b32_e64 v50, v44, v46, s[48:49]                  // 00000000A69C: D1000032 00C25D2C
	v_cmp_u_f32_e64 s[48:49], v187, v187                       // 00000000A6A4: D0480030 000377BB
	v_add3_u32 v44, v187, v47, 1                               // 00000000A6AC: D1FF002C 02065FBB
	v_cndmask_b32_e64 v51, v44, v46, s[48:49]                  // 00000000A6B4: D1000033 00C25D2C
	v_perm_b32 v181, v51, v50, s52                             // 00000000A6BC: D1ED00B5 00D26533
	v_cmp_u_f32_e64 s[48:49], v188, v188                       // 00000000A6C4: D0480030 000379BC
	v_add3_u32 v44, v188, v47, 1                               // 00000000A6CC: D1FF002C 02065FBC
	v_cndmask_b32_e64 v50, v44, v46, s[48:49]                  // 00000000A6D4: D1000032 00C25D2C
	v_cmp_u_f32_e64 s[48:49], v189, v189                       // 00000000A6DC: D0480030 00037BBD
	v_add3_u32 v44, v189, v47, 1                               // 00000000A6E4: D1FF002C 02065FBD
	v_cndmask_b32_e64 v51, v44, v46, s[48:49]                  // 00000000A6EC: D1000033 00C25D2C
	v_perm_b32 v182, v51, v50, s52                             // 00000000A6F4: D1ED00B6 00D26533
	v_cmp_u_f32_e64 s[48:49], v190, v190                       // 00000000A6FC: D0480030 00037DBE
	v_add3_u32 v44, v190, v47, 1                               // 00000000A704: D1FF002C 02065FBE
	v_cndmask_b32_e64 v50, v44, v46, s[48:49]                  // 00000000A70C: D1000032 00C25D2C
	v_cmp_u_f32_e64 s[48:49], v191, v191                       // 00000000A714: D0480030 00037FBF
	v_add3_u32 v44, v191, v47, 1                               // 00000000A71C: D1FF002C 02065FBF
	v_cndmask_b32_e64 v51, v44, v46, s[48:49]                  // 00000000A724: D1000033 00C25D2C
	v_perm_b32 v183, v51, v50, s52                             // 00000000A72C: D1ED00B7 00D26533
	v_cmp_u_f32_e64 s[48:49], v192, v192                       // 00000000A734: D0480030 000381C0
	v_add3_u32 v44, v192, v47, 1                               // 00000000A73C: D1FF002C 02065FC0
	v_cndmask_b32_e64 v50, v44, v46, s[48:49]                  // 00000000A744: D1000032 00C25D2C
	v_cmp_u_f32_e64 s[48:49], v193, v193                       // 00000000A74C: D0480030 000383C1
	v_add3_u32 v44, v193, v47, 1                               // 00000000A754: D1FF002C 02065FC1
	v_cndmask_b32_e64 v51, v44, v46, s[48:49]                  // 00000000A75C: D1000033 00C25D2C
	v_perm_b32 v184, v51, v50, s52                             // 00000000A764: D1ED00B8 00D26533
	v_cmp_u_f32_e64 s[48:49], v194, v194                       // 00000000A76C: D0480030 000385C2
	v_add3_u32 v44, v194, v47, 1                               // 00000000A774: D1FF002C 02065FC2
	v_cndmask_b32_e64 v50, v44, v46, s[48:49]                  // 00000000A77C: D1000032 00C25D2C
	v_cmp_u_f32_e64 s[48:49], v195, v195                       // 00000000A784: D0480030 000387C3
	v_add3_u32 v44, v195, v47, 1                               // 00000000A78C: D1FF002C 02065FC3
	v_cndmask_b32_e64 v51, v44, v46, s[48:49]                  // 00000000A794: D1000033 00C25D2C
	v_perm_b32 v185, v51, v50, s52                             // 00000000A79C: D1ED00B9 00D26533
	v_cmp_u_f32_e64 s[48:49], v196, v196                       // 00000000A7A4: D0480030 000389C4
	v_add3_u32 v44, v196, v47, 1                               // 00000000A7AC: D1FF002C 02065FC4
	v_cndmask_b32_e64 v50, v44, v46, s[48:49]                  // 00000000A7B4: D1000032 00C25D2C
	v_cmp_u_f32_e64 s[48:49], v197, v197                       // 00000000A7BC: D0480030 00038BC5
	v_add3_u32 v44, v197, v47, 1                               // 00000000A7C4: D1FF002C 02065FC5
	v_cndmask_b32_e64 v51, v44, v46, s[48:49]                  // 00000000A7CC: D1000033 00C25D2C
	v_perm_b32 v186, v51, v50, s52                             // 00000000A7D4: D1ED00BA 00D26533
	v_cmp_u_f32_e64 s[48:49], v198, v198                       // 00000000A7DC: D0480030 00038DC6
	v_add3_u32 v44, v198, v47, 1                               // 00000000A7E4: D1FF002C 02065FC6
	v_cndmask_b32_e64 v50, v44, v46, s[48:49]                  // 00000000A7EC: D1000032 00C25D2C
	v_cmp_u_f32_e64 s[48:49], v199, v199                       // 00000000A7F4: D0480030 00038FC7
	v_add3_u32 v44, v199, v47, 1                               // 00000000A7FC: D1FF002C 02065FC7
	v_cndmask_b32_e64 v51, v44, v46, s[48:49]                  // 00000000A804: D1000033 00C25D2C
	v_perm_b32 v187, v51, v50, s52                             // 00000000A80C: D1ED00BB 00D26533
	v_cmp_u_f32_e64 s[48:49], v200, v200                       // 00000000A814: D0480030 000391C8
	v_add3_u32 v44, v200, v47, 1                               // 00000000A81C: D1FF002C 02065FC8
	v_cndmask_b32_e64 v50, v44, v46, s[48:49]                  // 00000000A824: D1000032 00C25D2C
	v_cmp_u_f32_e64 s[48:49], v201, v201                       // 00000000A82C: D0480030 000393C9
	v_add3_u32 v44, v201, v47, 1                               // 00000000A834: D1FF002C 02065FC9
	v_cndmask_b32_e64 v51, v44, v46, s[48:49]                  // 00000000A83C: D1000033 00C25D2C
	v_perm_b32 v188, v51, v50, s52                             // 00000000A844: D1ED00BC 00D26533
	v_cmp_u_f32_e64 s[48:49], v202, v202                       // 00000000A84C: D0480030 000395CA
	v_add3_u32 v44, v202, v47, 1                               // 00000000A854: D1FF002C 02065FCA
	v_cndmask_b32_e64 v50, v44, v46, s[48:49]                  // 00000000A85C: D1000032 00C25D2C
	v_cmp_u_f32_e64 s[48:49], v203, v203                       // 00000000A864: D0480030 000397CB
	v_add3_u32 v44, v203, v47, 1                               // 00000000A86C: D1FF002C 02065FCB
	v_cndmask_b32_e64 v51, v44, v46, s[48:49]                  // 00000000A874: D1000033 00C25D2C
	v_perm_b32 v189, v51, v50, s52                             // 00000000A87C: D1ED00BD 00D26533
	v_cmp_u_f32_e64 s[48:49], v204, v204                       // 00000000A884: D0480030 000399CC
	v_add3_u32 v44, v204, v47, 1                               // 00000000A88C: D1FF002C 02065FCC
	v_cndmask_b32_e64 v50, v44, v46, s[48:49]                  // 00000000A894: D1000032 00C25D2C
	v_cmp_u_f32_e64 s[48:49], v205, v205                       // 00000000A89C: D0480030 00039BCD
	v_add3_u32 v44, v205, v47, 1                               // 00000000A8A4: D1FF002C 02065FCD
	v_cndmask_b32_e64 v51, v44, v46, s[48:49]                  // 00000000A8AC: D1000033 00C25D2C
	v_perm_b32 v190, v51, v50, s52                             // 00000000A8B4: D1ED00BE 00D26533
	v_cmp_u_f32_e64 s[48:49], v206, v206                       // 00000000A8BC: D0480030 00039DCE
	v_add3_u32 v44, v206, v47, 1                               // 00000000A8C4: D1FF002C 02065FCE
	v_cndmask_b32_e64 v50, v44, v46, s[48:49]                  // 00000000A8CC: D1000032 00C25D2C
	v_cmp_u_f32_e64 s[48:49], v207, v207                       // 00000000A8D4: D0480030 00039FCF
	v_add3_u32 v44, v207, v47, 1                               // 00000000A8DC: D1FF002C 02065FCF
	v_cndmask_b32_e64 v51, v44, v46, s[48:49]                  // 00000000A8E4: D1000033 00C25D2C
	v_perm_b32 v191, v51, v50, s52                             // 00000000A8EC: D1ED00BF 00D26533
	ds_write_b64 v3, v[176:177] offset:30976                   // 00000000A8F4: D89A7900 0000B003
	ds_write_b64 v3, v[178:179] offset:39680                   // 00000000A8FC: D89A9B00 0000B203
	ds_write_b64 v3, v[180:181] offset:33152                   // 00000000A904: D89A8180 0000B403
	ds_write_b64 v3, v[182:183] offset:41856                   // 00000000A90C: D89AA380 0000B603
	ds_write_b64 v3, v[184:185] offset:35328                   // 00000000A914: D89A8A00 0000B803
	ds_write_b64 v3, v[186:187] offset:44032                   // 00000000A91C: D89AAC00 0000BA03
	ds_write_b64 v3, v[188:189] offset:37504                   // 00000000A924: D89A9280 0000BC03
	ds_write_b64 v3, v[190:191] offset:46208                   // 00000000A92C: D89AB480 0000BE03
	s_waitcnt lgkmcnt(0)                                       // 00000000A934: BF8CC07F
	s_barrier                                                  // 00000000A938: BF8A0000
	ds_read_b32 v64, v4 offset:30976                           // 00000000A93C: D86C7900 40000004
	ds_read_b32 v65, v4 offset:35328                           // 00000000A944: D86C8A00 41000004
	ds_read_b32 v66, v4 offset:31008                           // 00000000A94C: D86C7920 42000004
	ds_read_b32 v67, v4 offset:35360                           // 00000000A954: D86C8A20 43000004
	ds_read_b32 v68, v4 offset:31040                           // 00000000A95C: D86C7940 44000004
	ds_read_b32 v69, v4 offset:35392                           // 00000000A964: D86C8A40 45000004
	ds_read_b32 v70, v4 offset:31072                           // 00000000A96C: D86C7960 46000004
	ds_read_b32 v71, v4 offset:35424                           // 00000000A974: D86C8A60 47000004
	ds_read_b32 v72, v4 offset:39680                           // 00000000A97C: D86C9B00 48000004
	ds_read_b32 v73, v4 offset:44032                           // 00000000A984: D86CAC00 49000004
	ds_read_b32 v74, v4 offset:39712                           // 00000000A98C: D86C9B20 4A000004
	ds_read_b32 v75, v4 offset:44064                           // 00000000A994: D86CAC20 4B000004
	ds_read_b32 v76, v4 offset:39744                           // 00000000A99C: D86C9B40 4C000004
	ds_read_b32 v77, v4 offset:44096                           // 00000000A9A4: D86CAC40 4D000004
	ds_read_b32 v78, v4 offset:39776                           // 00000000A9AC: D86C9B60 4E000004
	ds_read_b32 v79, v4 offset:44128                           // 00000000A9B4: D86CAC60 4F000004
	s_waitcnt lgkmcnt(0)                                       // 00000000A9BC: BF8CC07F
	s_mov_b64 exec, s[20:21]                                   // 00000000A9C0: BEFE0114
	global_atomic_pk_add_f16 v80, v64, s[8:9]                  // 00000000A9C4: DD388000 00084050
	s_mov_b64 exec, s[36:37]                                   // 00000000A9CC: BEFE0124
	s_mov_b64 exec, s[20:21]                                   // 00000000A9D0: BEFE0114
	global_atomic_pk_add_f16 v80, v65, s[8:9] offset:256       // 00000000A9D4: DD388100 00084150
	s_mov_b64 exec, s[36:37]                                   // 00000000A9DC: BEFE0124
	s_mov_b64 exec, s[22:23]                                   // 00000000A9E0: BEFE0116
	global_atomic_pk_add_f16 v82, v66, s[8:9]                  // 00000000A9E4: DD388000 00084252
	s_mov_b64 exec, s[36:37]                                   // 00000000A9EC: BEFE0124
	s_mov_b64 exec, s[22:23]                                   // 00000000A9F0: BEFE0116
	global_atomic_pk_add_f16 v82, v67, s[8:9] offset:256       // 00000000A9F4: DD388100 00084352
	s_mov_b64 exec, s[36:37]                                   // 00000000A9FC: BEFE0124
	s_mov_b64 exec, s[24:25]                                   // 00000000AA00: BEFE0118
	global_atomic_pk_add_f16 v84, v68, s[8:9]                  // 00000000AA04: DD388000 00084454
	s_mov_b64 exec, s[36:37]                                   // 00000000AA0C: BEFE0124
	s_mov_b64 exec, s[24:25]                                   // 00000000AA10: BEFE0118
	global_atomic_pk_add_f16 v84, v69, s[8:9] offset:256       // 00000000AA14: DD388100 00084554
	s_mov_b64 exec, s[36:37]                                   // 00000000AA1C: BEFE0124
	s_mov_b64 exec, s[26:27]                                   // 00000000AA20: BEFE011A
	global_atomic_pk_add_f16 v86, v70, s[8:9]                  // 00000000AA24: DD388000 00084656
	s_mov_b64 exec, s[36:37]                                   // 00000000AA2C: BEFE0124
	s_mov_b64 exec, s[26:27]                                   // 00000000AA30: BEFE011A
	global_atomic_pk_add_f16 v86, v71, s[8:9] offset:256       // 00000000AA34: DD388100 00084756
	s_mov_b64 exec, s[36:37]                                   // 00000000AA3C: BEFE0124
	s_mov_b64 exec, s[28:29]                                   // 00000000AA40: BEFE011C
	global_atomic_pk_add_f16 v88, v72, s[8:9]                  // 00000000AA44: DD388000 00084858
	s_mov_b64 exec, s[36:37]                                   // 00000000AA4C: BEFE0124
	s_mov_b64 exec, s[28:29]                                   // 00000000AA50: BEFE011C
	global_atomic_pk_add_f16 v88, v73, s[8:9] offset:256       // 00000000AA54: DD388100 00084958
	s_mov_b64 exec, s[36:37]                                   // 00000000AA5C: BEFE0124
	s_mov_b64 exec, s[30:31]                                   // 00000000AA60: BEFE011E
	global_atomic_pk_add_f16 v90, v74, s[8:9]                  // 00000000AA64: DD388000 00084A5A
	s_mov_b64 exec, s[36:37]                                   // 00000000AA6C: BEFE0124
	s_mov_b64 exec, s[30:31]                                   // 00000000AA70: BEFE011E
	global_atomic_pk_add_f16 v90, v75, s[8:9] offset:256       // 00000000AA74: DD388100 00084B5A
	s_mov_b64 exec, s[36:37]                                   // 00000000AA7C: BEFE0124
	s_mov_b64 exec, s[32:33]                                   // 00000000AA80: BEFE0120
	global_atomic_pk_add_f16 v92, v76, s[8:9]                  // 00000000AA84: DD388000 00084C5C
	s_mov_b64 exec, s[36:37]                                   // 00000000AA8C: BEFE0124
	s_mov_b64 exec, s[32:33]                                   // 00000000AA90: BEFE0120
	global_atomic_pk_add_f16 v92, v77, s[8:9] offset:256       // 00000000AA94: DD388100 00084D5C
	s_mov_b64 exec, s[36:37]                                   // 00000000AA9C: BEFE0124
	s_mov_b64 exec, s[34:35]                                   // 00000000AAA0: BEFE0122
	global_atomic_pk_add_f16 v94, v78, s[8:9]                  // 00000000AAA4: DD388000 00084E5E
	s_mov_b64 exec, s[36:37]                                   // 00000000AAAC: BEFE0124
	s_mov_b64 exec, s[34:35]                                   // 00000000AAB0: BEFE0122
	global_atomic_pk_add_f16 v94, v79, s[8:9] offset:256       // 00000000AAB4: DD388100 00084F5E
	s_mov_b64 exec, s[36:37]                                   // 00000000AABC: BEFE0124
	s_add_u32 s8, s59, s8                                      // 00000000AAC0: 8008083B
	s_addc_u32 s9, 0, s9                                       // 00000000AAC4: 82090980
	s_addk_i32 s80, 0x100                                      // 00000000AAC8: B7500100
	s_cmp_lt_i32 s80, s81                                      // 00000000AACC: BF045150
	s_cbranch_scc0 label_126C                                  // 00000000AAD0: BF84F337
	s_waitcnt vmcnt(37)                                        // 00000000AAD4: BF8C8F75
	s_barrier                                                  // 00000000AAD8: BF8A0000
	v_mfma_i32_16x16x32_i8 v[208:211], a[96:97], v[128:129], 0 // 00000000AADC: D3D700D0 0A030160
	buffer_load_dwordx4 a[0:3], v40, s[12:15], 0 offen         // 00000000AAE4: E05C1000 80830028
	v_mfma_i32_16x16x32_i8 v[208:211], a[98:99], v[130:131], v[208:211]// 00000000AAEC: D3D700D0 0F430562
	v_mfma_i32_16x16x32_i8 v[212:215], a[96:97], v[152:153], 0 // 00000000AAF4: D3D700D4 0A033160
	v_mfma_i32_16x16x32_i8 v[212:215], a[98:99], v[154:155], v[212:215]// 00000000AAFC: D3D700D4 0F533562
	v_mfma_i32_16x16x32_i8 v[216:219], a[100:101], v[128:129], 0// 00000000AB04: D3D700D8 0A030164
	buffer_load_dwordx4 a[4:7], v41, s[12:15], 0 offen         // 00000000AB0C: E05C1000 80830429
	v_mfma_i32_16x16x32_i8 v[216:219], a[102:103], v[130:131], v[216:219]// 00000000AB14: D3D700D8 0F630566
	v_mfma_i32_16x16x32_i8 v[220:223], a[100:101], v[152:153], 0// 00000000AB1C: D3D700DC 0A033164
	v_mfma_i32_16x16x32_i8 v[220:223], a[102:103], v[154:155], v[220:223]// 00000000AB24: D3D700DC 0F733566
	v_mfma_i32_16x16x32_i8 v[224:227], a[104:105], v[128:129], 0// 00000000AB2C: D3D700E0 0A030168
	buffer_load_dwordx4 a[8:11], v42, s[12:15], 0 offen        // 00000000AB34: E05C1000 8083082A
	v_mfma_i32_16x16x32_i8 v[224:227], a[106:107], v[130:131], v[224:227]// 00000000AB3C: D3D700E0 0F83056A
	v_mfma_i32_16x16x32_i8 v[228:231], a[104:105], v[152:153], 0// 00000000AB44: D3D700E4 0A033168
	v_mfma_i32_16x16x32_i8 v[228:231], a[106:107], v[154:155], v[228:231]// 00000000AB4C: D3D700E4 0F93356A
	v_mfma_i32_16x16x32_i8 v[232:235], a[108:109], v[128:129], 0// 00000000AB54: D3D700E8 0A03016C
	buffer_load_dwordx4 a[12:15], v43, s[12:15], 0 offen       // 00000000AB5C: E05C1000 80830C2B
	s_add_u32 s12, s78, s12                                    // 00000000AB64: 800C0C4E
	s_addc_u32 s13, 0, s13                                     // 00000000AB68: 820D0D80
	v_mfma_i32_16x16x32_i8 v[232:235], a[110:111], v[130:131], v[232:235]// 00000000AB6C: D3D700E8 0FA3056E
	v_mfma_i32_16x16x32_i8 v[236:239], a[108:109], v[152:153], 0// 00000000AB74: D3D700EC 0A03316C
	v_mfma_i32_16x16x32_i8 v[236:239], a[110:111], v[154:155], v[236:239]// 00000000AB7C: D3D700EC 0FB3356E
	s_waitcnt vmcnt(37)                                        // 00000000AB84: BF8C8F75
	v_mfma_i32_16x16x32_i8 v[208:211], a[112:113], v[132:133], v[208:211]// 00000000AB88: D3D700D0 0F430970
	buffer_load_dwordx4 a[16:19], v40, s[12:15], 0 offen       // 00000000AB90: E05C1000 80831028
	v_mfma_i32_16x16x32_i8 v[208:211], a[114:115], v[134:135], v[208:211]// 00000000AB98: D3D700D0 0F430D72
	v_mfma_i32_16x16x32_i8 v[212:215], a[112:113], v[156:157], v[212:215]// 00000000ABA0: D3D700D4 0F533970
	v_mfma_i32_16x16x32_i8 v[212:215], a[114:115], v[158:159], v[212:215]// 00000000ABA8: D3D700D4 0F533D72
	v_mfma_i32_16x16x32_i8 v[216:219], a[116:117], v[132:133], v[216:219]// 00000000ABB0: D3D700D8 0F630974
	buffer_load_dwordx4 a[20:23], v41, s[12:15], 0 offen       // 00000000ABB8: E05C1000 80831429
	v_mfma_i32_16x16x32_i8 v[216:219], a[118:119], v[134:135], v[216:219]// 00000000ABC0: D3D700D8 0F630D76
	v_mfma_i32_16x16x32_i8 v[220:223], a[116:117], v[156:157], v[220:223]// 00000000ABC8: D3D700DC 0F733974
	v_mfma_i32_16x16x32_i8 v[220:223], a[118:119], v[158:159], v[220:223]// 00000000ABD0: D3D700DC 0F733D76
	v_mfma_i32_16x16x32_i8 v[224:227], a[120:121], v[132:133], v[224:227]// 00000000ABD8: D3D700E0 0F830978
	buffer_load_dwordx4 a[24:27], v42, s[12:15], 0 offen       // 00000000ABE0: E05C1000 8083182A
	v_mfma_i32_16x16x32_i8 v[224:227], a[122:123], v[134:135], v[224:227]// 00000000ABE8: D3D700E0 0F830D7A
	v_mfma_i32_16x16x32_i8 v[228:231], a[120:121], v[156:157], v[228:231]// 00000000ABF0: D3D700E4 0F933978
	v_mfma_i32_16x16x32_i8 v[228:231], a[122:123], v[158:159], v[228:231]// 00000000ABF8: D3D700E4 0F933D7A
	v_mfma_i32_16x16x32_i8 v[232:235], a[124:125], v[132:133], v[232:235]// 00000000AC00: D3D700E8 0FA3097C
	buffer_load_dwordx4 a[28:31], v43, s[12:15], 0 offen       // 00000000AC08: E05C1000 80831C2B
	s_add_u32 s12, s78, s12                                    // 00000000AC10: 800C0C4E
	s_addc_u32 s13, 0, s13                                     // 00000000AC14: 820D0D80
	v_mfma_i32_16x16x32_i8 v[232:235], a[126:127], v[134:135], v[232:235]// 00000000AC18: D3D700E8 0FA30D7E
	v_mfma_i32_16x16x32_i8 v[236:239], a[124:125], v[156:157], v[236:239]// 00000000AC20: D3D700EC 0FB3397C
	v_mfma_i32_16x16x32_i8 v[236:239], a[126:127], v[158:159], v[236:239]// 00000000AC28: D3D700EC 0FB33D7E
	s_waitcnt vmcnt(37)                                        // 00000000AC30: BF8C8F75
	v_mfma_i32_16x16x32_i8 v[208:211], a[128:129], v[136:137], v[208:211]// 00000000AC34: D3D700D0 0F431180
	buffer_load_dwordx4 a[32:35], v40, s[12:15], 0 offen       // 00000000AC3C: E05C1000 80832028
	v_mfma_i32_16x16x32_i8 v[208:211], a[130:131], v[138:139], v[208:211]// 00000000AC44: D3D700D0 0F431582
	v_mfma_i32_16x16x32_i8 v[212:215], a[128:129], v[160:161], v[212:215]// 00000000AC4C: D3D700D4 0F534180
	v_mfma_i32_16x16x32_i8 v[212:215], a[130:131], v[162:163], v[212:215]// 00000000AC54: D3D700D4 0F534582
	v_mfma_i32_16x16x32_i8 v[216:219], a[132:133], v[136:137], v[216:219]// 00000000AC5C: D3D700D8 0F631184
	buffer_load_dwordx4 a[36:39], v41, s[12:15], 0 offen       // 00000000AC64: E05C1000 80832429
	v_mfma_i32_16x16x32_i8 v[216:219], a[134:135], v[138:139], v[216:219]// 00000000AC6C: D3D700D8 0F631586
	v_mfma_i32_16x16x32_i8 v[220:223], a[132:133], v[160:161], v[220:223]// 00000000AC74: D3D700DC 0F734184
	v_mfma_i32_16x16x32_i8 v[220:223], a[134:135], v[162:163], v[220:223]// 00000000AC7C: D3D700DC 0F734586
	v_mfma_i32_16x16x32_i8 v[224:227], a[136:137], v[136:137], v[224:227]// 00000000AC84: D3D700E0 0F831188
	buffer_load_dwordx4 a[40:43], v42, s[12:15], 0 offen       // 00000000AC8C: E05C1000 8083282A
	v_mfma_i32_16x16x32_i8 v[224:227], a[138:139], v[138:139], v[224:227]// 00000000AC94: D3D700E0 0F83158A
	v_mfma_i32_16x16x32_i8 v[228:231], a[136:137], v[160:161], v[228:231]// 00000000AC9C: D3D700E4 0F934188
	v_mfma_i32_16x16x32_i8 v[228:231], a[138:139], v[162:163], v[228:231]// 00000000ACA4: D3D700E4 0F93458A
	v_mfma_i32_16x16x32_i8 v[232:235], a[140:141], v[136:137], v[232:235]// 00000000ACAC: D3D700E8 0FA3118C
	buffer_load_dwordx4 a[44:47], v43, s[12:15], 0 offen       // 00000000ACB4: E05C1000 80832C2B
	s_add_u32 s12, s78, s12                                    // 00000000ACBC: 800C0C4E
	s_addc_u32 s13, 0, s13                                     // 00000000ACC0: 820D0D80
	v_mfma_i32_16x16x32_i8 v[232:235], a[142:143], v[138:139], v[232:235]// 00000000ACC4: D3D700E8 0FA3158E
	v_mfma_i32_16x16x32_i8 v[236:239], a[140:141], v[160:161], v[236:239]// 00000000ACCC: D3D700EC 0FB3418C
	v_mfma_i32_16x16x32_i8 v[236:239], a[142:143], v[162:163], v[236:239]// 00000000ACD4: D3D700EC 0FB3458E
	s_waitcnt vmcnt(37)                                        // 00000000ACDC: BF8C8F75
	v_mfma_i32_16x16x32_i8 v[208:211], a[144:145], v[140:141], v[208:211]// 00000000ACE0: D3D700D0 0F431990
	buffer_load_dwordx4 a[48:51], v40, s[12:15], 0 offen       // 00000000ACE8: E05C1000 80833028
	v_mfma_i32_16x16x32_i8 v[208:211], a[146:147], v[142:143], v[208:211]// 00000000ACF0: D3D700D0 0F431D92
	v_mfma_i32_16x16x32_i8 v[212:215], a[144:145], v[164:165], v[212:215]// 00000000ACF8: D3D700D4 0F534990
	v_mfma_i32_16x16x32_i8 v[212:215], a[146:147], v[166:167], v[212:215]// 00000000AD00: D3D700D4 0F534D92
	v_mfma_i32_16x16x32_i8 v[216:219], a[148:149], v[140:141], v[216:219]// 00000000AD08: D3D700D8 0F631994
	buffer_load_dwordx4 a[52:55], v41, s[12:15], 0 offen       // 00000000AD10: E05C1000 80833429
	v_mfma_i32_16x16x32_i8 v[216:219], a[150:151], v[142:143], v[216:219]// 00000000AD18: D3D700D8 0F631D96
	v_mfma_i32_16x16x32_i8 v[220:223], a[148:149], v[164:165], v[220:223]// 00000000AD20: D3D700DC 0F734994
	v_mfma_i32_16x16x32_i8 v[220:223], a[150:151], v[166:167], v[220:223]// 00000000AD28: D3D700DC 0F734D96
	v_mfma_i32_16x16x32_i8 v[224:227], a[152:153], v[140:141], v[224:227]// 00000000AD30: D3D700E0 0F831998
	buffer_load_dwordx4 a[56:59], v42, s[12:15], 0 offen       // 00000000AD38: E05C1000 8083382A
	v_mfma_i32_16x16x32_i8 v[224:227], a[154:155], v[142:143], v[224:227]// 00000000AD40: D3D700E0 0F831D9A
	v_mfma_i32_16x16x32_i8 v[228:231], a[152:153], v[164:165], v[228:231]// 00000000AD48: D3D700E4 0F934998
	v_mfma_i32_16x16x32_i8 v[228:231], a[154:155], v[166:167], v[228:231]// 00000000AD50: D3D700E4 0F934D9A
	v_mfma_i32_16x16x32_i8 v[232:235], a[156:157], v[140:141], v[232:235]// 00000000AD58: D3D700E8 0FA3199C
	buffer_load_dwordx4 a[60:63], v43, s[12:15], 0 offen       // 00000000AD60: E05C1000 80833C2B
	s_add_u32 s12, s78, s12                                    // 00000000AD68: 800C0C4E
	s_addc_u32 s13, 0, s13                                     // 00000000AD6C: 820D0D80
	v_mfma_i32_16x16x32_i8 v[232:235], a[158:159], v[142:143], v[232:235]// 00000000AD70: D3D700E8 0FA31D9E
	v_mfma_i32_16x16x32_i8 v[236:239], a[156:157], v[164:165], v[236:239]// 00000000AD78: D3D700EC 0FB3499C
	v_mfma_i32_16x16x32_i8 v[236:239], a[158:159], v[166:167], v[236:239]// 00000000AD80: D3D700EC 0FB34D9E
	s_waitcnt vmcnt(37)                                        // 00000000AD88: BF8C8F75
	v_mfma_i32_16x16x32_i8 v[208:211], a[160:161], v[144:145], v[208:211]// 00000000AD8C: D3D700D0 0F4321A0
	buffer_load_dwordx4 a[64:67], v40, s[12:15], 0 offen       // 00000000AD94: E05C1000 80834028
	v_mfma_i32_16x16x32_i8 v[208:211], a[162:163], v[146:147], v[208:211]// 00000000AD9C: D3D700D0 0F4325A2
	v_mfma_i32_16x16x32_i8 v[212:215], a[160:161], v[168:169], v[212:215]// 00000000ADA4: D3D700D4 0F5351A0
	v_mfma_i32_16x16x32_i8 v[212:215], a[162:163], v[170:171], v[212:215]// 00000000ADAC: D3D700D4 0F5355A2
	v_mfma_i32_16x16x32_i8 v[216:219], a[164:165], v[144:145], v[216:219]// 00000000ADB4: D3D700D8 0F6321A4
	buffer_load_dwordx4 a[68:71], v41, s[12:15], 0 offen       // 00000000ADBC: E05C1000 80834429
	v_mfma_i32_16x16x32_i8 v[216:219], a[166:167], v[146:147], v[216:219]// 00000000ADC4: D3D700D8 0F6325A6
	v_mfma_i32_16x16x32_i8 v[220:223], a[164:165], v[168:169], v[220:223]// 00000000ADCC: D3D700DC 0F7351A4
	v_mfma_i32_16x16x32_i8 v[220:223], a[166:167], v[170:171], v[220:223]// 00000000ADD4: D3D700DC 0F7355A6
	v_mfma_i32_16x16x32_i8 v[224:227], a[168:169], v[144:145], v[224:227]// 00000000ADDC: D3D700E0 0F8321A8
	buffer_load_dwordx4 a[72:75], v42, s[12:15], 0 offen       // 00000000ADE4: E05C1000 8083482A
	v_mfma_i32_16x16x32_i8 v[224:227], a[170:171], v[146:147], v[224:227]// 00000000ADEC: D3D700E0 0F8325AA
	v_mfma_i32_16x16x32_i8 v[228:231], a[168:169], v[168:169], v[228:231]// 00000000ADF4: D3D700E4 0F9351A8
	v_mfma_i32_16x16x32_i8 v[228:231], a[170:171], v[170:171], v[228:231]// 00000000ADFC: D3D700E4 0F9355AA
	v_mfma_i32_16x16x32_i8 v[232:235], a[172:173], v[144:145], v[232:235]// 00000000AE04: D3D700E8 0FA321AC
	buffer_load_dwordx4 a[76:79], v43, s[12:15], 0 offen       // 00000000AE0C: E05C1000 80834C2B
	s_add_u32 s12, s78, s12                                    // 00000000AE14: 800C0C4E
	s_addc_u32 s13, 0, s13                                     // 00000000AE18: 820D0D80
	v_mfma_i32_16x16x32_i8 v[232:235], a[174:175], v[146:147], v[232:235]// 00000000AE1C: D3D700E8 0FA325AE
	v_mfma_i32_16x16x32_i8 v[236:239], a[172:173], v[168:169], v[236:239]// 00000000AE24: D3D700EC 0FB351AC
	v_mfma_i32_16x16x32_i8 v[236:239], a[174:175], v[170:171], v[236:239]// 00000000AE2C: D3D700EC 0FB355AE
	s_waitcnt vmcnt(36)                                        // 00000000AE34: BF8C8F74
	v_mfma_i32_16x16x32_i8 v[208:211], a[176:177], v[148:149], v[208:211]// 00000000AE38: D3D700D0 0F4329B0
	buffer_load_dwordx4 a[80:83], v40, s[12:15], 0 offen       // 00000000AE40: E05C1000 80835028
	v_mfma_i32_16x16x32_i8 v[208:211], a[178:179], v[150:151], v[208:211]// 00000000AE48: D3D700D0 0F432DB2
	v_mfma_i32_16x16x32_i8 v[212:215], a[176:177], v[172:173], v[212:215]// 00000000AE50: D3D700D4 0F5359B0
	buffer_load_dword v12, v5, s[16:19], 0 offen               // 00000000AE58: E0501000 80040C05
	v_mfma_i32_16x16x32_i8 v[212:215], a[178:179], v[174:175], v[212:215]// 00000000AE60: D3D700D4 0F535DB2
	v_mfma_i32_16x16x32_i8 v[216:219], a[180:181], v[148:149], v[216:219]// 00000000AE68: D3D700D8 0F6329B4
	buffer_load_dwordx4 a[84:87], v41, s[12:15], 0 offen       // 00000000AE70: E05C1000 80835429
	v_mfma_i32_16x16x32_i8 v[216:219], a[182:183], v[150:151], v[216:219]// 00000000AE78: D3D700D8 0F632DB6
	v_mfma_i32_16x16x32_i8 v[220:223], a[180:181], v[172:173], v[220:223]// 00000000AE80: D3D700DC 0F7359B4
	v_mfma_i32_16x16x32_i8 v[220:223], a[182:183], v[174:175], v[220:223]// 00000000AE88: D3D700DC 0F735DB6
	v_mfma_i32_16x16x32_i8 v[224:227], a[184:185], v[148:149], v[224:227]// 00000000AE90: D3D700E0 0F8329B8
	buffer_load_dwordx4 a[88:91], v42, s[12:15], 0 offen       // 00000000AE98: E05C1000 8083582A
	v_mfma_i32_16x16x32_i8 v[224:227], a[186:187], v[150:151], v[224:227]// 00000000AEA0: D3D700E0 0F832DBA
	v_mfma_i32_16x16x32_i8 v[228:231], a[184:185], v[172:173], v[228:231]// 00000000AEA8: D3D700E4 0F9359B8
	v_mfma_i32_16x16x32_i8 v[228:231], a[186:187], v[174:175], v[228:231]// 00000000AEB0: D3D700E4 0F935DBA
	v_mfma_i32_16x16x32_i8 v[232:235], a[188:189], v[148:149], v[232:235]// 00000000AEB8: D3D700E8 0FA329BC
	buffer_load_dwordx4 a[92:95], v43, s[12:15], 0 offen       // 00000000AEC0: E05C1000 80835C2B
	v_mfma_i32_16x16x32_i8 v[232:235], a[190:191], v[150:151], v[232:235]// 00000000AEC8: D3D700E8 0FA32DBE
	v_mfma_i32_16x16x32_i8 v[236:239], a[188:189], v[172:173], v[236:239]// 00000000AED0: D3D700EC 0FB359BC
	v_mfma_i32_16x16x32_i8 v[236:239], a[190:191], v[174:175], v[236:239]// 00000000AED8: D3D700EC 0FB35DBE
	s_add_u32 s60, 0x200, s80                                  // 00000000AEE0: 803C50FF 00000200
	s_cmp_lt_u32 s60, s81                                      // 00000000AEE8: BF0A513C
	s_cselect_b32 s56, s56, 0                                  // 00000000AEEC: 85388038
	s_cselect_b32 s78, s78, 0                                  // 00000000AEF0: 854E804E
	s_cselect_b32 s79, s79, 0                                  // 00000000AEF4: 854F804F
	s_add_u32 s12, s56, s12                                    // 00000000AEF8: 800C0C38
	s_addc_u32 s13, 0, s13                                     // 00000000AEFC: 820D0D80
	s_add_u32 s16, s79, s16                                    // 00000000AF00: 8010104F
	s_addc_u32 s17, 0, s17                                     // 00000000AF04: 82111180
	v_cvt_f32_i32_e32 v208, v208                               // 00000000AF08: 7FA00BD0
	v_cvt_f32_i32_e32 v209, v209                               // 00000000AF0C: 7FA20BD1
	v_cvt_f32_i32_e32 v210, v210                               // 00000000AF10: 7FA40BD2
	v_cvt_f32_i32_e32 v211, v211                               // 00000000AF14: 7FA60BD3
	v_mul_f32_e32 v208, v24, v208                              // 00000000AF18: 0BA1A118
	v_mul_f32_e32 v209, v24, v209                              // 00000000AF1C: 0BA3A318
	v_mul_f32_e32 v210, v24, v210                              // 00000000AF20: 0BA5A518
	v_mul_f32_e32 v211, v24, v211                              // 00000000AF24: 0BA7A718
	v_mul_f32_dpp v208, v13, v208 row_newbcast:0 row_mask:0xf bank_mask:0xf// 00000000AF28: 0BA1A0FA FF01500D
	v_mul_f32_dpp v209, v13, v209 row_newbcast:1 row_mask:0xf bank_mask:0xf// 00000000AF30: 0BA3A2FA FF01510D
	v_mul_f32_dpp v210, v13, v210 row_newbcast:2 row_mask:0xf bank_mask:0xf// 00000000AF38: 0BA5A4FA FF01520D
	v_mul_f32_dpp v211, v13, v211 row_newbcast:3 row_mask:0xf bank_mask:0xf// 00000000AF40: 0BA7A6FA FF01530D
	v_mul_f32_e32 v208, v20, v208                              // 00000000AF48: 0BA1A114
	v_mul_f32_e32 v209, v20, v209                              // 00000000AF4C: 0BA3A314
	v_mul_f32_e32 v210, v20, v210                              // 00000000AF50: 0BA5A514
	v_mul_f32_e32 v211, v20, v211                              // 00000000AF54: 0BA7A714
	v_cvt_f32_i32_e32 v212, v212                               // 00000000AF58: 7FA80BD4
	v_cvt_f32_i32_e32 v213, v213                               // 00000000AF5C: 7FAA0BD5
	v_cvt_f32_i32_e32 v214, v214                               // 00000000AF60: 7FAC0BD6
	v_cvt_f32_i32_e32 v215, v215                               // 00000000AF64: 7FAE0BD7
	v_mul_f32_e32 v212, v25, v212                              // 00000000AF68: 0BA9A919
	v_mul_f32_e32 v213, v25, v213                              // 00000000AF6C: 0BABAB19
	v_mul_f32_e32 v214, v25, v214                              // 00000000AF70: 0BADAD19
	v_mul_f32_e32 v215, v25, v215                              // 00000000AF74: 0BAFAF19
	v_mul_f32_dpp v212, v13, v212 row_newbcast:0 row_mask:0xf bank_mask:0xf// 00000000AF78: 0BA9A8FA FF01500D
	v_mul_f32_dpp v213, v13, v213 row_newbcast:1 row_mask:0xf bank_mask:0xf// 00000000AF80: 0BABAAFA FF01510D
	v_mul_f32_dpp v214, v13, v214 row_newbcast:2 row_mask:0xf bank_mask:0xf// 00000000AF88: 0BADACFA FF01520D
	v_mul_f32_dpp v215, v13, v215 row_newbcast:3 row_mask:0xf bank_mask:0xf// 00000000AF90: 0BAFAEFA FF01530D
	v_mul_f32_e32 v212, v21, v212                              // 00000000AF98: 0BA9A915
	v_mul_f32_e32 v213, v21, v213                              // 00000000AF9C: 0BABAB15
	v_mul_f32_e32 v214, v21, v214                              // 00000000AFA0: 0BADAD15
	v_mul_f32_e32 v215, v21, v215                              // 00000000AFA4: 0BAFAF15
	v_cvt_f32_i32_e32 v216, v216                               // 00000000AFA8: 7FB00BD8
	v_cvt_f32_i32_e32 v217, v217                               // 00000000AFAC: 7FB20BD9
	v_cvt_f32_i32_e32 v218, v218                               // 00000000AFB0: 7FB40BDA
	v_cvt_f32_i32_e32 v219, v219                               // 00000000AFB4: 7FB60BDB
	v_mul_f32_e32 v216, v24, v216                              // 00000000AFB8: 0BB1B118
	v_mul_f32_e32 v217, v24, v217                              // 00000000AFBC: 0BB3B318
	v_mul_f32_e32 v218, v24, v218                              // 00000000AFC0: 0BB5B518
	v_mul_f32_e32 v219, v24, v219                              // 00000000AFC4: 0BB7B718
	v_mul_f32_dpp v216, v13, v216 row_newbcast:4 row_mask:0xf bank_mask:0xf// 00000000AFC8: 0BB1B0FA FF01540D
	v_mul_f32_dpp v217, v13, v217 row_newbcast:5 row_mask:0xf bank_mask:0xf// 00000000AFD0: 0BB3B2FA FF01550D
	v_mul_f32_dpp v218, v13, v218 row_newbcast:6 row_mask:0xf bank_mask:0xf// 00000000AFD8: 0BB5B4FA FF01560D
	v_mul_f32_dpp v219, v13, v219 row_newbcast:7 row_mask:0xf bank_mask:0xf// 00000000AFE0: 0BB7B6FA FF01570D
	v_mul_f32_e32 v216, v20, v216                              // 00000000AFE8: 0BB1B114
	v_mul_f32_e32 v217, v20, v217                              // 00000000AFEC: 0BB3B314
	v_mul_f32_e32 v218, v20, v218                              // 00000000AFF0: 0BB5B514
	v_mul_f32_e32 v219, v20, v219                              // 00000000AFF4: 0BB7B714
	v_cvt_f32_i32_e32 v220, v220                               // 00000000AFF8: 7FB80BDC
	v_cvt_f32_i32_e32 v221, v221                               // 00000000AFFC: 7FBA0BDD
	v_cvt_f32_i32_e32 v222, v222                               // 00000000B000: 7FBC0BDE
	v_cvt_f32_i32_e32 v223, v223                               // 00000000B004: 7FBE0BDF
	v_mul_f32_e32 v220, v25, v220                              // 00000000B008: 0BB9B919
	v_mul_f32_e32 v221, v25, v221                              // 00000000B00C: 0BBBBB19
	v_mul_f32_e32 v222, v25, v222                              // 00000000B010: 0BBDBD19
	v_mul_f32_e32 v223, v25, v223                              // 00000000B014: 0BBFBF19
	v_mul_f32_dpp v220, v13, v220 row_newbcast:4 row_mask:0xf bank_mask:0xf// 00000000B018: 0BB9B8FA FF01540D
	v_mul_f32_dpp v221, v13, v221 row_newbcast:5 row_mask:0xf bank_mask:0xf// 00000000B020: 0BBBBAFA FF01550D
	v_mul_f32_dpp v222, v13, v222 row_newbcast:6 row_mask:0xf bank_mask:0xf// 00000000B028: 0BBDBCFA FF01560D
	v_mul_f32_dpp v223, v13, v223 row_newbcast:7 row_mask:0xf bank_mask:0xf// 00000000B030: 0BBFBEFA FF01570D
	v_mul_f32_e32 v220, v21, v220                              // 00000000B038: 0BB9B915
	v_mul_f32_e32 v221, v21, v221                              // 00000000B03C: 0BBBBB15
	v_mul_f32_e32 v222, v21, v222                              // 00000000B040: 0BBDBD15
	v_mul_f32_e32 v223, v21, v223                              // 00000000B044: 0BBFBF15
	v_cvt_f32_i32_e32 v224, v224                               // 00000000B048: 7FC00BE0
	v_cvt_f32_i32_e32 v225, v225                               // 00000000B04C: 7FC20BE1
	v_cvt_f32_i32_e32 v226, v226                               // 00000000B050: 7FC40BE2
	v_cvt_f32_i32_e32 v227, v227                               // 00000000B054: 7FC60BE3
	v_mul_f32_e32 v224, v24, v224                              // 00000000B058: 0BC1C118
	v_mul_f32_e32 v225, v24, v225                              // 00000000B05C: 0BC3C318
	v_mul_f32_e32 v226, v24, v226                              // 00000000B060: 0BC5C518
	v_mul_f32_e32 v227, v24, v227                              // 00000000B064: 0BC7C718
	v_mul_f32_dpp v224, v13, v224 row_newbcast:8 row_mask:0xf bank_mask:0xf// 00000000B068: 0BC1C0FA FF01580D
	v_mul_f32_dpp v225, v13, v225 row_newbcast:9 row_mask:0xf bank_mask:0xf// 00000000B070: 0BC3C2FA FF01590D
	v_mul_f32_dpp v226, v13, v226 row_newbcast:10 row_mask:0xf bank_mask:0xf// 00000000B078: 0BC5C4FA FF015A0D
	v_mul_f32_dpp v227, v13, v227 row_newbcast:11 row_mask:0xf bank_mask:0xf// 00000000B080: 0BC7C6FA FF015B0D
	v_mul_f32_e32 v224, v20, v224                              // 00000000B088: 0BC1C114
	v_mul_f32_e32 v225, v20, v225                              // 00000000B08C: 0BC3C314
	v_mul_f32_e32 v226, v20, v226                              // 00000000B090: 0BC5C514
	v_mul_f32_e32 v227, v20, v227                              // 00000000B094: 0BC7C714
	v_cvt_f32_i32_e32 v228, v228                               // 00000000B098: 7FC80BE4
	v_cvt_f32_i32_e32 v229, v229                               // 00000000B09C: 7FCA0BE5
	v_cvt_f32_i32_e32 v230, v230                               // 00000000B0A0: 7FCC0BE6
	v_cvt_f32_i32_e32 v231, v231                               // 00000000B0A4: 7FCE0BE7
	v_mul_f32_e32 v228, v25, v228                              // 00000000B0A8: 0BC9C919
	v_mul_f32_e32 v229, v25, v229                              // 00000000B0AC: 0BCBCB19
	v_mul_f32_e32 v230, v25, v230                              // 00000000B0B0: 0BCDCD19
	v_mul_f32_e32 v231, v25, v231                              // 00000000B0B4: 0BCFCF19
	v_mul_f32_dpp v228, v13, v228 row_newbcast:8 row_mask:0xf bank_mask:0xf// 00000000B0B8: 0BC9C8FA FF01580D
	v_mul_f32_dpp v229, v13, v229 row_newbcast:9 row_mask:0xf bank_mask:0xf// 00000000B0C0: 0BCBCAFA FF01590D
	v_mul_f32_dpp v230, v13, v230 row_newbcast:10 row_mask:0xf bank_mask:0xf// 00000000B0C8: 0BCDCCFA FF015A0D
	v_mul_f32_dpp v231, v13, v231 row_newbcast:11 row_mask:0xf bank_mask:0xf// 00000000B0D0: 0BCFCEFA FF015B0D
	v_mul_f32_e32 v228, v21, v228                              // 00000000B0D8: 0BC9C915
	v_mul_f32_e32 v229, v21, v229                              // 00000000B0DC: 0BCBCB15
	v_mul_f32_e32 v230, v21, v230                              // 00000000B0E0: 0BCDCD15
	v_mul_f32_e32 v231, v21, v231                              // 00000000B0E4: 0BCFCF15
	v_cvt_f32_i32_e32 v232, v232                               // 00000000B0E8: 7FD00BE8
	v_cvt_f32_i32_e32 v233, v233                               // 00000000B0EC: 7FD20BE9
	v_cvt_f32_i32_e32 v234, v234                               // 00000000B0F0: 7FD40BEA
	v_cvt_f32_i32_e32 v235, v235                               // 00000000B0F4: 7FD60BEB
	v_mul_f32_e32 v232, v24, v232                              // 00000000B0F8: 0BD1D118
	v_mul_f32_e32 v233, v24, v233                              // 00000000B0FC: 0BD3D318
	v_mul_f32_e32 v234, v24, v234                              // 00000000B100: 0BD5D518
	v_mul_f32_e32 v235, v24, v235                              // 00000000B104: 0BD7D718
	v_mul_f32_dpp v232, v13, v232 row_newbcast:12 row_mask:0xf bank_mask:0xf// 00000000B108: 0BD1D0FA FF015C0D
	v_mul_f32_dpp v233, v13, v233 row_newbcast:13 row_mask:0xf bank_mask:0xf// 00000000B110: 0BD3D2FA FF015D0D
	v_mul_f32_dpp v234, v13, v234 row_newbcast:14 row_mask:0xf bank_mask:0xf// 00000000B118: 0BD5D4FA FF015E0D
	v_mul_f32_dpp v235, v13, v235 row_newbcast:15 row_mask:0xf bank_mask:0xf// 00000000B120: 0BD7D6FA FF015F0D
	v_mul_f32_e32 v232, v20, v232                              // 00000000B128: 0BD1D114
	v_mul_f32_e32 v233, v20, v233                              // 00000000B12C: 0BD3D314
	v_mul_f32_e32 v234, v20, v234                              // 00000000B130: 0BD5D514
	v_mul_f32_e32 v235, v20, v235                              // 00000000B134: 0BD7D714
	v_cvt_f32_i32_e32 v236, v236                               // 00000000B138: 7FD80BEC
	v_cvt_f32_i32_e32 v237, v237                               // 00000000B13C: 7FDA0BED
	v_cvt_f32_i32_e32 v238, v238                               // 00000000B140: 7FDC0BEE
	v_cvt_f32_i32_e32 v239, v239                               // 00000000B144: 7FDE0BEF
	v_mul_f32_e32 v236, v25, v236                              // 00000000B148: 0BD9D919
	v_mul_f32_e32 v237, v25, v237                              // 00000000B14C: 0BDBDB19
	v_mul_f32_e32 v238, v25, v238                              // 00000000B150: 0BDDDD19
	v_mul_f32_e32 v239, v25, v239                              // 00000000B154: 0BDFDF19
	v_mul_f32_dpp v236, v13, v236 row_newbcast:12 row_mask:0xf bank_mask:0xf// 00000000B158: 0BD9D8FA FF015C0D
	v_mul_f32_dpp v237, v13, v237 row_newbcast:13 row_mask:0xf bank_mask:0xf// 00000000B160: 0BDBDAFA FF015D0D
	v_mul_f32_dpp v238, v13, v238 row_newbcast:14 row_mask:0xf bank_mask:0xf// 00000000B168: 0BDDDCFA FF015E0D
	v_mul_f32_dpp v239, v13, v239 row_newbcast:15 row_mask:0xf bank_mask:0xf// 00000000B170: 0BDFDEFA FF015F0D
	v_mul_f32_e32 v236, v21, v236                              // 00000000B178: 0BD9D915
	v_mul_f32_e32 v237, v21, v237                              // 00000000B17C: 0BDBDB15
	v_mul_f32_e32 v238, v21, v238                              // 00000000B180: 0BDDDD15
	v_mul_f32_e32 v239, v21, v239                              // 00000000B184: 0BDFDF15
	v_cmp_u_f32_e64 s[48:49], v208, v208                       // 00000000B188: D0480030 0003A1D0
	v_add3_u32 v44, v208, v47, 1                               // 00000000B190: D1FF002C 02065FD0
	v_cndmask_b32_e64 v50, v44, v46, s[48:49]                  // 00000000B198: D1000032 00C25D2C
	v_cmp_u_f32_e64 s[48:49], v209, v209                       // 00000000B1A0: D0480030 0003A3D1
	v_add3_u32 v44, v209, v47, 1                               // 00000000B1A8: D1FF002C 02065FD1
	v_cndmask_b32_e64 v51, v44, v46, s[48:49]                  // 00000000B1B0: D1000033 00C25D2C
	v_perm_b32 v208, v51, v50, s52                             // 00000000B1B8: D1ED00D0 00D26533
	v_cmp_u_f32_e64 s[48:49], v210, v210                       // 00000000B1C0: D0480030 0003A5D2
	v_add3_u32 v44, v210, v47, 1                               // 00000000B1C8: D1FF002C 02065FD2
	v_cndmask_b32_e64 v50, v44, v46, s[48:49]                  // 00000000B1D0: D1000032 00C25D2C
	v_cmp_u_f32_e64 s[48:49], v211, v211                       // 00000000B1D8: D0480030 0003A7D3
	v_add3_u32 v44, v211, v47, 1                               // 00000000B1E0: D1FF002C 02065FD3
	v_cndmask_b32_e64 v51, v44, v46, s[48:49]                  // 00000000B1E8: D1000033 00C25D2C
	v_perm_b32 v209, v51, v50, s52                             // 00000000B1F0: D1ED00D1 00D26533
	v_cmp_u_f32_e64 s[48:49], v212, v212                       // 00000000B1F8: D0480030 0003A9D4
	v_add3_u32 v44, v212, v47, 1                               // 00000000B200: D1FF002C 02065FD4
	v_cndmask_b32_e64 v50, v44, v46, s[48:49]                  // 00000000B208: D1000032 00C25D2C
	v_cmp_u_f32_e64 s[48:49], v213, v213                       // 00000000B210: D0480030 0003ABD5
	v_add3_u32 v44, v213, v47, 1                               // 00000000B218: D1FF002C 02065FD5
	v_cndmask_b32_e64 v51, v44, v46, s[48:49]                  // 00000000B220: D1000033 00C25D2C
	v_perm_b32 v210, v51, v50, s52                             // 00000000B228: D1ED00D2 00D26533
	v_cmp_u_f32_e64 s[48:49], v214, v214                       // 00000000B230: D0480030 0003ADD6
	v_add3_u32 v44, v214, v47, 1                               // 00000000B238: D1FF002C 02065FD6
	v_cndmask_b32_e64 v50, v44, v46, s[48:49]                  // 00000000B240: D1000032 00C25D2C
	v_cmp_u_f32_e64 s[48:49], v215, v215                       // 00000000B248: D0480030 0003AFD7
	v_add3_u32 v44, v215, v47, 1                               // 00000000B250: D1FF002C 02065FD7
	v_cndmask_b32_e64 v51, v44, v46, s[48:49]                  // 00000000B258: D1000033 00C25D2C
	v_perm_b32 v211, v51, v50, s52                             // 00000000B260: D1ED00D3 00D26533
	v_cmp_u_f32_e64 s[48:49], v216, v216                       // 00000000B268: D0480030 0003B1D8
	v_add3_u32 v44, v216, v47, 1                               // 00000000B270: D1FF002C 02065FD8
	v_cndmask_b32_e64 v50, v44, v46, s[48:49]                  // 00000000B278: D1000032 00C25D2C
	v_cmp_u_f32_e64 s[48:49], v217, v217                       // 00000000B280: D0480030 0003B3D9
	v_add3_u32 v44, v217, v47, 1                               // 00000000B288: D1FF002C 02065FD9
	v_cndmask_b32_e64 v51, v44, v46, s[48:49]                  // 00000000B290: D1000033 00C25D2C
	v_perm_b32 v212, v51, v50, s52                             // 00000000B298: D1ED00D4 00D26533
	v_cmp_u_f32_e64 s[48:49], v218, v218                       // 00000000B2A0: D0480030 0003B5DA
	v_add3_u32 v44, v218, v47, 1                               // 00000000B2A8: D1FF002C 02065FDA
	v_cndmask_b32_e64 v50, v44, v46, s[48:49]                  // 00000000B2B0: D1000032 00C25D2C
	v_cmp_u_f32_e64 s[48:49], v219, v219                       // 00000000B2B8: D0480030 0003B7DB
	v_add3_u32 v44, v219, v47, 1                               // 00000000B2C0: D1FF002C 02065FDB
	v_cndmask_b32_e64 v51, v44, v46, s[48:49]                  // 00000000B2C8: D1000033 00C25D2C
	v_perm_b32 v213, v51, v50, s52                             // 00000000B2D0: D1ED00D5 00D26533
	v_cmp_u_f32_e64 s[48:49], v220, v220                       // 00000000B2D8: D0480030 0003B9DC
	v_add3_u32 v44, v220, v47, 1                               // 00000000B2E0: D1FF002C 02065FDC
	v_cndmask_b32_e64 v50, v44, v46, s[48:49]                  // 00000000B2E8: D1000032 00C25D2C
	v_cmp_u_f32_e64 s[48:49], v221, v221                       // 00000000B2F0: D0480030 0003BBDD
	v_add3_u32 v44, v221, v47, 1                               // 00000000B2F8: D1FF002C 02065FDD
	v_cndmask_b32_e64 v51, v44, v46, s[48:49]                  // 00000000B300: D1000033 00C25D2C
	v_perm_b32 v214, v51, v50, s52                             // 00000000B308: D1ED00D6 00D26533
	v_cmp_u_f32_e64 s[48:49], v222, v222                       // 00000000B310: D0480030 0003BDDE
	v_add3_u32 v44, v222, v47, 1                               // 00000000B318: D1FF002C 02065FDE
	v_cndmask_b32_e64 v50, v44, v46, s[48:49]                  // 00000000B320: D1000032 00C25D2C
	v_cmp_u_f32_e64 s[48:49], v223, v223                       // 00000000B328: D0480030 0003BFDF
	v_add3_u32 v44, v223, v47, 1                               // 00000000B330: D1FF002C 02065FDF
	v_cndmask_b32_e64 v51, v44, v46, s[48:49]                  // 00000000B338: D1000033 00C25D2C
	v_perm_b32 v215, v51, v50, s52                             // 00000000B340: D1ED00D7 00D26533
	v_cmp_u_f32_e64 s[48:49], v224, v224                       // 00000000B348: D0480030 0003C1E0
	v_add3_u32 v44, v224, v47, 1                               // 00000000B350: D1FF002C 02065FE0
	v_cndmask_b32_e64 v50, v44, v46, s[48:49]                  // 00000000B358: D1000032 00C25D2C
	v_cmp_u_f32_e64 s[48:49], v225, v225                       // 00000000B360: D0480030 0003C3E1
	v_add3_u32 v44, v225, v47, 1                               // 00000000B368: D1FF002C 02065FE1
	v_cndmask_b32_e64 v51, v44, v46, s[48:49]                  // 00000000B370: D1000033 00C25D2C
	v_perm_b32 v216, v51, v50, s52                             // 00000000B378: D1ED00D8 00D26533
	v_cmp_u_f32_e64 s[48:49], v226, v226                       // 00000000B380: D0480030 0003C5E2
	v_add3_u32 v44, v226, v47, 1                               // 00000000B388: D1FF002C 02065FE2
	v_cndmask_b32_e64 v50, v44, v46, s[48:49]                  // 00000000B390: D1000032 00C25D2C
	v_cmp_u_f32_e64 s[48:49], v227, v227                       // 00000000B398: D0480030 0003C7E3
	v_add3_u32 v44, v227, v47, 1                               // 00000000B3A0: D1FF002C 02065FE3
	v_cndmask_b32_e64 v51, v44, v46, s[48:49]                  // 00000000B3A8: D1000033 00C25D2C
	v_perm_b32 v217, v51, v50, s52                             // 00000000B3B0: D1ED00D9 00D26533
	v_cmp_u_f32_e64 s[48:49], v228, v228                       // 00000000B3B8: D0480030 0003C9E4
	v_add3_u32 v44, v228, v47, 1                               // 00000000B3C0: D1FF002C 02065FE4
	v_cndmask_b32_e64 v50, v44, v46, s[48:49]                  // 00000000B3C8: D1000032 00C25D2C
	v_cmp_u_f32_e64 s[48:49], v229, v229                       // 00000000B3D0: D0480030 0003CBE5
	v_add3_u32 v44, v229, v47, 1                               // 00000000B3D8: D1FF002C 02065FE5
	v_cndmask_b32_e64 v51, v44, v46, s[48:49]                  // 00000000B3E0: D1000033 00C25D2C
	v_perm_b32 v218, v51, v50, s52                             // 00000000B3E8: D1ED00DA 00D26533
	v_cmp_u_f32_e64 s[48:49], v230, v230                       // 00000000B3F0: D0480030 0003CDE6
	v_add3_u32 v44, v230, v47, 1                               // 00000000B3F8: D1FF002C 02065FE6
	v_cndmask_b32_e64 v50, v44, v46, s[48:49]                  // 00000000B400: D1000032 00C25D2C
	v_cmp_u_f32_e64 s[48:49], v231, v231                       // 00000000B408: D0480030 0003CFE7
	v_add3_u32 v44, v231, v47, 1                               // 00000000B410: D1FF002C 02065FE7
	v_cndmask_b32_e64 v51, v44, v46, s[48:49]                  // 00000000B418: D1000033 00C25D2C
	v_perm_b32 v219, v51, v50, s52                             // 00000000B420: D1ED00DB 00D26533
	v_cmp_u_f32_e64 s[48:49], v232, v232                       // 00000000B428: D0480030 0003D1E8
	v_add3_u32 v44, v232, v47, 1                               // 00000000B430: D1FF002C 02065FE8
	v_cndmask_b32_e64 v50, v44, v46, s[48:49]                  // 00000000B438: D1000032 00C25D2C
	v_cmp_u_f32_e64 s[48:49], v233, v233                       // 00000000B440: D0480030 0003D3E9
	v_add3_u32 v44, v233, v47, 1                               // 00000000B448: D1FF002C 02065FE9
	v_cndmask_b32_e64 v51, v44, v46, s[48:49]                  // 00000000B450: D1000033 00C25D2C
	v_perm_b32 v220, v51, v50, s52                             // 00000000B458: D1ED00DC 00D26533
	v_cmp_u_f32_e64 s[48:49], v234, v234                       // 00000000B460: D0480030 0003D5EA
	v_add3_u32 v44, v234, v47, 1                               // 00000000B468: D1FF002C 02065FEA
	v_cndmask_b32_e64 v50, v44, v46, s[48:49]                  // 00000000B470: D1000032 00C25D2C
	v_cmp_u_f32_e64 s[48:49], v235, v235                       // 00000000B478: D0480030 0003D7EB
	v_add3_u32 v44, v235, v47, 1                               // 00000000B480: D1FF002C 02065FEB
	v_cndmask_b32_e64 v51, v44, v46, s[48:49]                  // 00000000B488: D1000033 00C25D2C
	v_perm_b32 v221, v51, v50, s52                             // 00000000B490: D1ED00DD 00D26533
	v_cmp_u_f32_e64 s[48:49], v236, v236                       // 00000000B498: D0480030 0003D9EC
	v_add3_u32 v44, v236, v47, 1                               // 00000000B4A0: D1FF002C 02065FEC
	v_cndmask_b32_e64 v50, v44, v46, s[48:49]                  // 00000000B4A8: D1000032 00C25D2C
	v_cmp_u_f32_e64 s[48:49], v237, v237                       // 00000000B4B0: D0480030 0003DBED
	v_add3_u32 v44, v237, v47, 1                               // 00000000B4B8: D1FF002C 02065FED
	v_cndmask_b32_e64 v51, v44, v46, s[48:49]                  // 00000000B4C0: D1000033 00C25D2C
	v_perm_b32 v222, v51, v50, s52                             // 00000000B4C8: D1ED00DE 00D26533
	v_cmp_u_f32_e64 s[48:49], v238, v238                       // 00000000B4D0: D0480030 0003DDEE
	v_add3_u32 v44, v238, v47, 1                               // 00000000B4D8: D1FF002C 02065FEE
	v_cndmask_b32_e64 v50, v44, v46, s[48:49]                  // 00000000B4E0: D1000032 00C25D2C
	v_cmp_u_f32_e64 s[48:49], v239, v239                       // 00000000B4E8: D0480030 0003DFEF
	v_add3_u32 v44, v239, v47, 1                               // 00000000B4F0: D1FF002C 02065FEF
	v_cndmask_b32_e64 v51, v44, v46, s[48:49]                  // 00000000B4F8: D1000033 00C25D2C
	v_perm_b32 v223, v51, v50, s52                             // 00000000B500: D1ED00DF 00D26533
	ds_write_b64 v3, v[208:209] offset:30976                   // 00000000B508: D89A7900 0000D003
	ds_write_b64 v3, v[210:211] offset:39680                   // 00000000B510: D89A9B00 0000D203
	ds_write_b64 v3, v[212:213] offset:33152                   // 00000000B518: D89A8180 0000D403
	ds_write_b64 v3, v[214:215] offset:41856                   // 00000000B520: D89AA380 0000D603
	ds_write_b64 v3, v[216:217] offset:35328                   // 00000000B528: D89A8A00 0000D803
	ds_write_b64 v3, v[218:219] offset:44032                   // 00000000B530: D89AAC00 0000DA03
	ds_write_b64 v3, v[220:221] offset:37504                   // 00000000B538: D89A9280 0000DC03
	ds_write_b64 v3, v[222:223] offset:46208                   // 00000000B540: D89AB480 0000DE03
	s_waitcnt lgkmcnt(0)                                       // 00000000B548: BF8CC07F
	s_barrier                                                  // 00000000B54C: BF8A0000
	ds_read_b32 v64, v4 offset:30976                           // 00000000B550: D86C7900 40000004
	ds_read_b32 v65, v4 offset:35328                           // 00000000B558: D86C8A00 41000004
	ds_read_b32 v66, v4 offset:31008                           // 00000000B560: D86C7920 42000004
	ds_read_b32 v67, v4 offset:35360                           // 00000000B568: D86C8A20 43000004
	ds_read_b32 v68, v4 offset:31040                           // 00000000B570: D86C7940 44000004
	ds_read_b32 v69, v4 offset:35392                           // 00000000B578: D86C8A40 45000004
	ds_read_b32 v70, v4 offset:31072                           // 00000000B580: D86C7960 46000004
	ds_read_b32 v71, v4 offset:35424                           // 00000000B588: D86C8A60 47000004
	ds_read_b32 v72, v4 offset:39680                           // 00000000B590: D86C9B00 48000004
	ds_read_b32 v73, v4 offset:44032                           // 00000000B598: D86CAC00 49000004
	ds_read_b32 v74, v4 offset:39712                           // 00000000B5A0: D86C9B20 4A000004
	ds_read_b32 v75, v4 offset:44064                           // 00000000B5A8: D86CAC20 4B000004
	ds_read_b32 v76, v4 offset:39744                           // 00000000B5B0: D86C9B40 4C000004
	ds_read_b32 v77, v4 offset:44096                           // 00000000B5B8: D86CAC40 4D000004
	ds_read_b32 v78, v4 offset:39776                           // 00000000B5C0: D86C9B60 4E000004
	ds_read_b32 v79, v4 offset:44128                           // 00000000B5C8: D86CAC60 4F000004
	s_waitcnt lgkmcnt(0)                                       // 00000000B5D0: BF8CC07F
	s_mov_b64 exec, s[20:21]                                   // 00000000B5D4: BEFE0114
	global_atomic_pk_add_f16 v80, v64, s[8:9]                  // 00000000B5D8: DD388000 00084050
	s_mov_b64 exec, s[36:37]                                   // 00000000B5E0: BEFE0124
	s_mov_b64 exec, s[20:21]                                   // 00000000B5E4: BEFE0114
	global_atomic_pk_add_f16 v80, v65, s[8:9] offset:256       // 00000000B5E8: DD388100 00084150
	s_mov_b64 exec, s[36:37]                                   // 00000000B5F0: BEFE0124
	s_mov_b64 exec, s[22:23]                                   // 00000000B5F4: BEFE0116
	global_atomic_pk_add_f16 v82, v66, s[8:9]                  // 00000000B5F8: DD388000 00084252
	s_mov_b64 exec, s[36:37]                                   // 00000000B600: BEFE0124
	s_mov_b64 exec, s[22:23]                                   // 00000000B604: BEFE0116
	global_atomic_pk_add_f16 v82, v67, s[8:9] offset:256       // 00000000B608: DD388100 00084352
	s_mov_b64 exec, s[36:37]                                   // 00000000B610: BEFE0124
	s_mov_b64 exec, s[24:25]                                   // 00000000B614: BEFE0118
	global_atomic_pk_add_f16 v84, v68, s[8:9]                  // 00000000B618: DD388000 00084454
	s_mov_b64 exec, s[36:37]                                   // 00000000B620: BEFE0124
	s_mov_b64 exec, s[24:25]                                   // 00000000B624: BEFE0118
	global_atomic_pk_add_f16 v84, v69, s[8:9] offset:256       // 00000000B628: DD388100 00084554
	s_mov_b64 exec, s[36:37]                                   // 00000000B630: BEFE0124
	s_mov_b64 exec, s[26:27]                                   // 00000000B634: BEFE011A
	global_atomic_pk_add_f16 v86, v70, s[8:9]                  // 00000000B638: DD388000 00084656
	s_mov_b64 exec, s[36:37]                                   // 00000000B640: BEFE0124
	s_mov_b64 exec, s[26:27]                                   // 00000000B644: BEFE011A
	global_atomic_pk_add_f16 v86, v71, s[8:9] offset:256       // 00000000B648: DD388100 00084756
	s_mov_b64 exec, s[36:37]                                   // 00000000B650: BEFE0124
	s_mov_b64 exec, s[28:29]                                   // 00000000B654: BEFE011C
	global_atomic_pk_add_f16 v88, v72, s[8:9]                  // 00000000B658: DD388000 00084858
	s_mov_b64 exec, s[36:37]                                   // 00000000B660: BEFE0124
	s_mov_b64 exec, s[28:29]                                   // 00000000B664: BEFE011C
	global_atomic_pk_add_f16 v88, v73, s[8:9] offset:256       // 00000000B668: DD388100 00084958
	s_mov_b64 exec, s[36:37]                                   // 00000000B670: BEFE0124
	s_mov_b64 exec, s[30:31]                                   // 00000000B674: BEFE011E
	global_atomic_pk_add_f16 v90, v74, s[8:9]                  // 00000000B678: DD388000 00084A5A
	s_mov_b64 exec, s[36:37]                                   // 00000000B680: BEFE0124
	s_mov_b64 exec, s[30:31]                                   // 00000000B684: BEFE011E
	global_atomic_pk_add_f16 v90, v75, s[8:9] offset:256       // 00000000B688: DD388100 00084B5A
	s_mov_b64 exec, s[36:37]                                   // 00000000B690: BEFE0124
	s_mov_b64 exec, s[32:33]                                   // 00000000B694: BEFE0120
	global_atomic_pk_add_f16 v92, v76, s[8:9]                  // 00000000B698: DD388000 00084C5C
	s_mov_b64 exec, s[36:37]                                   // 00000000B6A0: BEFE0124
	s_mov_b64 exec, s[32:33]                                   // 00000000B6A4: BEFE0120
	global_atomic_pk_add_f16 v92, v77, s[8:9] offset:256       // 00000000B6A8: DD388100 00084D5C
	s_mov_b64 exec, s[36:37]                                   // 00000000B6B0: BEFE0124
	s_mov_b64 exec, s[34:35]                                   // 00000000B6B4: BEFE0122
	global_atomic_pk_add_f16 v94, v78, s[8:9]                  // 00000000B6B8: DD388000 00084E5E
	s_mov_b64 exec, s[36:37]                                   // 00000000B6C0: BEFE0124
	s_mov_b64 exec, s[34:35]                                   // 00000000B6C4: BEFE0122
	global_atomic_pk_add_f16 v94, v79, s[8:9] offset:256       // 00000000B6C8: DD388100 00084F5E
	s_mov_b64 exec, s[36:37]                                   // 00000000B6D0: BEFE0124
	s_add_u32 s8, s59, s8                                      // 00000000B6D4: 8008083B
	s_addc_u32 s9, 0, s9                                       // 00000000B6D8: 82090980
	s_addk_i32 s80, 0x100                                      // 00000000B6DC: B7500100
	s_cmp_lt_i32 s80, s81                                      // 00000000B6E0: BF045150
	s_cbranch_scc0 label_126C                                  // 00000000B6E4: BF84F032
	s_branch label_1C30                                        // 00000000B6E8: BF82F9F5

000000000000b6ec <label_223B>:
	s_waitcnt vmcnt(0) expcnt(0) lgkmcnt(0)                    // 00000000B6EC: BF8C0000
	s_endpgm                                                   // 00000000B6F0: BF810000
